;; amdgpu-corpus repo=ROCm/rocFFT kind=compiled arch=gfx1201 opt=O3
	.text
	.amdgcn_target "amdgcn-amd-amdhsa--gfx1201"
	.amdhsa_code_object_version 6
	.protected	fft_rtc_back_len374_factors_17_2_11_wgs_238_tpt_34_halfLds_dp_ip_CI_unitstride_sbrr_R2C_dirReg ; -- Begin function fft_rtc_back_len374_factors_17_2_11_wgs_238_tpt_34_halfLds_dp_ip_CI_unitstride_sbrr_R2C_dirReg
	.globl	fft_rtc_back_len374_factors_17_2_11_wgs_238_tpt_34_halfLds_dp_ip_CI_unitstride_sbrr_R2C_dirReg
	.p2align	8
	.type	fft_rtc_back_len374_factors_17_2_11_wgs_238_tpt_34_halfLds_dp_ip_CI_unitstride_sbrr_R2C_dirReg,@function
fft_rtc_back_len374_factors_17_2_11_wgs_238_tpt_34_halfLds_dp_ip_CI_unitstride_sbrr_R2C_dirReg: ; @fft_rtc_back_len374_factors_17_2_11_wgs_238_tpt_34_halfLds_dp_ip_CI_unitstride_sbrr_R2C_dirReg
; %bb.0:
	s_load_b128 s[4:7], s[0:1], 0x0
	v_mul_u32_u24_e32 v1, 0x788, v0
	s_clause 0x1
	s_load_b64 s[8:9], s[0:1], 0x50
	s_load_b64 s[10:11], s[0:1], 0x18
	v_mov_b32_e32 v5, 0
	v_lshrrev_b32_e32 v1, 16, v1
	s_delay_alu instid0(VALU_DEP_1) | instskip(SKIP_3) | instid1(VALU_DEP_1)
	v_mad_co_u64_u32 v[1:2], null, ttmp9, 7, v[1:2]
	v_mov_b32_e32 v3, 0
	v_mov_b32_e32 v4, 0
	;; [unrolled: 1-line block ×4, first 2 shown]
	s_wait_kmcnt 0x0
	v_cmp_lt_u64_e64 s2, s[6:7], 2
	v_mov_b32_e32 v9, v1
	s_delay_alu instid0(VALU_DEP_2)
	s_and_b32 vcc_lo, exec_lo, s2
	s_cbranch_vccnz .LBB0_8
; %bb.1:
	s_load_b64 s[2:3], s[0:1], 0x10
	v_dual_mov_b32 v3, 0 :: v_dual_mov_b32 v8, v2
	v_dual_mov_b32 v4, 0 :: v_dual_mov_b32 v7, v1
	s_add_nc_u64 s[12:13], s[10:11], 8
	s_mov_b64 s[14:15], 1
	s_wait_kmcnt 0x0
	s_add_nc_u64 s[16:17], s[2:3], 8
	s_mov_b32 s3, 0
.LBB0_2:                                ; =>This Inner Loop Header: Depth=1
	s_load_b64 s[18:19], s[16:17], 0x0
                                        ; implicit-def: $vgpr9_vgpr10
	s_mov_b32 s2, exec_lo
	s_wait_kmcnt 0x0
	v_or_b32_e32 v6, s19, v8
	s_delay_alu instid0(VALU_DEP_1)
	v_cmpx_ne_u64_e32 0, v[5:6]
	s_wait_alu 0xfffe
	s_xor_b32 s20, exec_lo, s2
	s_cbranch_execz .LBB0_4
; %bb.3:                                ;   in Loop: Header=BB0_2 Depth=1
	s_cvt_f32_u32 s2, s18
	s_cvt_f32_u32 s21, s19
	s_sub_nc_u64 s[24:25], 0, s[18:19]
	s_wait_alu 0xfffe
	s_delay_alu instid0(SALU_CYCLE_1) | instskip(SKIP_1) | instid1(SALU_CYCLE_2)
	s_fmamk_f32 s2, s21, 0x4f800000, s2
	s_wait_alu 0xfffe
	v_s_rcp_f32 s2, s2
	s_delay_alu instid0(TRANS32_DEP_1) | instskip(SKIP_1) | instid1(SALU_CYCLE_2)
	s_mul_f32 s2, s2, 0x5f7ffffc
	s_wait_alu 0xfffe
	s_mul_f32 s21, s2, 0x2f800000
	s_wait_alu 0xfffe
	s_delay_alu instid0(SALU_CYCLE_2) | instskip(SKIP_1) | instid1(SALU_CYCLE_2)
	s_trunc_f32 s21, s21
	s_wait_alu 0xfffe
	s_fmamk_f32 s2, s21, 0xcf800000, s2
	s_cvt_u32_f32 s23, s21
	s_wait_alu 0xfffe
	s_delay_alu instid0(SALU_CYCLE_1) | instskip(SKIP_1) | instid1(SALU_CYCLE_2)
	s_cvt_u32_f32 s22, s2
	s_wait_alu 0xfffe
	s_mul_u64 s[26:27], s[24:25], s[22:23]
	s_wait_alu 0xfffe
	s_mul_hi_u32 s29, s22, s27
	s_mul_i32 s28, s22, s27
	s_mul_hi_u32 s2, s22, s26
	s_mul_i32 s30, s23, s26
	s_wait_alu 0xfffe
	s_add_nc_u64 s[28:29], s[2:3], s[28:29]
	s_mul_hi_u32 s21, s23, s26
	s_mul_hi_u32 s31, s23, s27
	s_add_co_u32 s2, s28, s30
	s_wait_alu 0xfffe
	s_add_co_ci_u32 s2, s29, s21
	s_mul_i32 s26, s23, s27
	s_add_co_ci_u32 s27, s31, 0
	s_wait_alu 0xfffe
	s_add_nc_u64 s[26:27], s[2:3], s[26:27]
	s_wait_alu 0xfffe
	v_add_co_u32 v2, s2, s22, s26
	s_delay_alu instid0(VALU_DEP_1) | instskip(SKIP_1) | instid1(VALU_DEP_1)
	s_cmp_lg_u32 s2, 0
	s_add_co_ci_u32 s23, s23, s27
	v_readfirstlane_b32 s22, v2
	s_wait_alu 0xfffe
	s_delay_alu instid0(VALU_DEP_1)
	s_mul_u64 s[24:25], s[24:25], s[22:23]
	s_wait_alu 0xfffe
	s_mul_hi_u32 s27, s22, s25
	s_mul_i32 s26, s22, s25
	s_mul_hi_u32 s2, s22, s24
	s_mul_i32 s28, s23, s24
	s_wait_alu 0xfffe
	s_add_nc_u64 s[26:27], s[2:3], s[26:27]
	s_mul_hi_u32 s21, s23, s24
	s_mul_hi_u32 s22, s23, s25
	s_wait_alu 0xfffe
	s_add_co_u32 s2, s26, s28
	s_add_co_ci_u32 s2, s27, s21
	s_mul_i32 s24, s23, s25
	s_add_co_ci_u32 s25, s22, 0
	s_wait_alu 0xfffe
	s_add_nc_u64 s[24:25], s[2:3], s[24:25]
	s_wait_alu 0xfffe
	v_add_co_u32 v2, s2, v2, s24
	s_delay_alu instid0(VALU_DEP_1) | instskip(SKIP_1) | instid1(VALU_DEP_1)
	s_cmp_lg_u32 s2, 0
	s_add_co_ci_u32 s2, s23, s25
	v_mul_hi_u32 v6, v7, v2
	s_wait_alu 0xfffe
	v_mad_co_u64_u32 v[9:10], null, v7, s2, 0
	v_mad_co_u64_u32 v[11:12], null, v8, v2, 0
	;; [unrolled: 1-line block ×3, first 2 shown]
	s_delay_alu instid0(VALU_DEP_3) | instskip(SKIP_1) | instid1(VALU_DEP_4)
	v_add_co_u32 v2, vcc_lo, v6, v9
	s_wait_alu 0xfffd
	v_add_co_ci_u32_e32 v6, vcc_lo, 0, v10, vcc_lo
	s_delay_alu instid0(VALU_DEP_2) | instskip(SKIP_1) | instid1(VALU_DEP_2)
	v_add_co_u32 v2, vcc_lo, v2, v11
	s_wait_alu 0xfffd
	v_add_co_ci_u32_e32 v2, vcc_lo, v6, v12, vcc_lo
	s_wait_alu 0xfffd
	v_add_co_ci_u32_e32 v6, vcc_lo, 0, v14, vcc_lo
	s_delay_alu instid0(VALU_DEP_2) | instskip(SKIP_1) | instid1(VALU_DEP_2)
	v_add_co_u32 v2, vcc_lo, v2, v13
	s_wait_alu 0xfffd
	v_add_co_ci_u32_e32 v6, vcc_lo, 0, v6, vcc_lo
	s_delay_alu instid0(VALU_DEP_2) | instskip(SKIP_1) | instid1(VALU_DEP_3)
	v_mul_lo_u32 v11, s19, v2
	v_mad_co_u64_u32 v[9:10], null, s18, v2, 0
	v_mul_lo_u32 v12, s18, v6
	s_delay_alu instid0(VALU_DEP_2) | instskip(NEXT) | instid1(VALU_DEP_2)
	v_sub_co_u32 v9, vcc_lo, v7, v9
	v_add3_u32 v10, v10, v12, v11
	s_delay_alu instid0(VALU_DEP_1) | instskip(SKIP_1) | instid1(VALU_DEP_1)
	v_sub_nc_u32_e32 v11, v8, v10
	s_wait_alu 0xfffd
	v_subrev_co_ci_u32_e64 v11, s2, s19, v11, vcc_lo
	v_add_co_u32 v12, s2, v2, 2
	s_wait_alu 0xf1ff
	v_add_co_ci_u32_e64 v13, s2, 0, v6, s2
	v_sub_co_u32 v14, s2, v9, s18
	v_sub_co_ci_u32_e32 v10, vcc_lo, v8, v10, vcc_lo
	s_wait_alu 0xf1ff
	v_subrev_co_ci_u32_e64 v11, s2, 0, v11, s2
	s_delay_alu instid0(VALU_DEP_3) | instskip(NEXT) | instid1(VALU_DEP_3)
	v_cmp_le_u32_e32 vcc_lo, s18, v14
	v_cmp_eq_u32_e64 s2, s19, v10
	s_wait_alu 0xfffd
	v_cndmask_b32_e64 v14, 0, -1, vcc_lo
	v_cmp_le_u32_e32 vcc_lo, s19, v11
	s_wait_alu 0xfffd
	v_cndmask_b32_e64 v15, 0, -1, vcc_lo
	v_cmp_le_u32_e32 vcc_lo, s18, v9
	;; [unrolled: 3-line block ×3, first 2 shown]
	s_wait_alu 0xfffd
	v_cndmask_b32_e64 v16, 0, -1, vcc_lo
	v_cmp_eq_u32_e32 vcc_lo, s19, v11
	s_wait_alu 0xf1ff
	s_delay_alu instid0(VALU_DEP_2)
	v_cndmask_b32_e64 v9, v16, v9, s2
	s_wait_alu 0xfffd
	v_cndmask_b32_e32 v11, v15, v14, vcc_lo
	v_add_co_u32 v14, vcc_lo, v2, 1
	s_wait_alu 0xfffd
	v_add_co_ci_u32_e32 v15, vcc_lo, 0, v6, vcc_lo
	s_delay_alu instid0(VALU_DEP_3) | instskip(SKIP_1) | instid1(VALU_DEP_2)
	v_cmp_ne_u32_e32 vcc_lo, 0, v11
	s_wait_alu 0xfffd
	v_dual_cndmask_b32 v10, v15, v13 :: v_dual_cndmask_b32 v11, v14, v12
	v_cmp_ne_u32_e32 vcc_lo, 0, v9
	s_wait_alu 0xfffd
	s_delay_alu instid0(VALU_DEP_2) | instskip(NEXT) | instid1(VALU_DEP_3)
	v_cndmask_b32_e32 v10, v6, v10, vcc_lo
	v_cndmask_b32_e32 v9, v2, v11, vcc_lo
.LBB0_4:                                ;   in Loop: Header=BB0_2 Depth=1
	s_wait_alu 0xfffe
	s_and_not1_saveexec_b32 s2, s20
	s_cbranch_execz .LBB0_6
; %bb.5:                                ;   in Loop: Header=BB0_2 Depth=1
	v_cvt_f32_u32_e32 v2, s18
	s_sub_co_i32 s20, 0, s18
	s_delay_alu instid0(VALU_DEP_1) | instskip(NEXT) | instid1(TRANS32_DEP_1)
	v_rcp_iflag_f32_e32 v2, v2
	v_mul_f32_e32 v2, 0x4f7ffffe, v2
	s_delay_alu instid0(VALU_DEP_1) | instskip(SKIP_1) | instid1(VALU_DEP_1)
	v_cvt_u32_f32_e32 v2, v2
	s_wait_alu 0xfffe
	v_mul_lo_u32 v6, s20, v2
	s_delay_alu instid0(VALU_DEP_1) | instskip(NEXT) | instid1(VALU_DEP_1)
	v_mul_hi_u32 v6, v2, v6
	v_add_nc_u32_e32 v2, v2, v6
	s_delay_alu instid0(VALU_DEP_1) | instskip(NEXT) | instid1(VALU_DEP_1)
	v_mul_hi_u32 v2, v7, v2
	v_mul_lo_u32 v6, v2, s18
	v_add_nc_u32_e32 v9, 1, v2
	s_delay_alu instid0(VALU_DEP_2) | instskip(NEXT) | instid1(VALU_DEP_1)
	v_sub_nc_u32_e32 v6, v7, v6
	v_subrev_nc_u32_e32 v10, s18, v6
	v_cmp_le_u32_e32 vcc_lo, s18, v6
	s_wait_alu 0xfffd
	s_delay_alu instid0(VALU_DEP_2) | instskip(SKIP_2) | instid1(VALU_DEP_3)
	v_cndmask_b32_e32 v6, v6, v10, vcc_lo
	v_mov_b32_e32 v10, v5
	v_cndmask_b32_e32 v2, v2, v9, vcc_lo
	v_cmp_le_u32_e32 vcc_lo, s18, v6
	s_delay_alu instid0(VALU_DEP_2) | instskip(SKIP_1) | instid1(VALU_DEP_1)
	v_add_nc_u32_e32 v9, 1, v2
	s_wait_alu 0xfffd
	v_cndmask_b32_e32 v9, v2, v9, vcc_lo
.LBB0_6:                                ;   in Loop: Header=BB0_2 Depth=1
	s_wait_alu 0xfffe
	s_or_b32 exec_lo, exec_lo, s2
	s_load_b64 s[20:21], s[12:13], 0x0
	v_mul_lo_u32 v2, v10, s18
	v_mul_lo_u32 v6, v9, s19
	v_mad_co_u64_u32 v[11:12], null, v9, s18, 0
	s_add_nc_u64 s[14:15], s[14:15], 1
	s_add_nc_u64 s[12:13], s[12:13], 8
	s_wait_alu 0xfffe
	v_cmp_ge_u64_e64 s2, s[14:15], s[6:7]
	s_add_nc_u64 s[16:17], s[16:17], 8
	s_delay_alu instid0(VALU_DEP_2) | instskip(NEXT) | instid1(VALU_DEP_3)
	v_add3_u32 v2, v12, v6, v2
	v_sub_co_u32 v6, vcc_lo, v7, v11
	s_wait_alu 0xfffd
	s_delay_alu instid0(VALU_DEP_2) | instskip(SKIP_3) | instid1(VALU_DEP_2)
	v_sub_co_ci_u32_e32 v2, vcc_lo, v8, v2, vcc_lo
	s_and_b32 vcc_lo, exec_lo, s2
	s_wait_kmcnt 0x0
	v_mul_lo_u32 v7, s21, v6
	v_mul_lo_u32 v2, s20, v2
	v_mad_co_u64_u32 v[3:4], null, s20, v6, v[3:4]
	s_delay_alu instid0(VALU_DEP_1)
	v_add3_u32 v4, v7, v4, v2
	s_wait_alu 0xfffe
	s_cbranch_vccnz .LBB0_8
; %bb.7:                                ;   in Loop: Header=BB0_2 Depth=1
	v_dual_mov_b32 v7, v9 :: v_dual_mov_b32 v8, v10
	s_branch .LBB0_2
.LBB0_8:
	v_mul_hi_u32 v2, 0x24924925, v1
	s_lshl_b64 s[2:3], s[6:7], 3
	s_load_b64 s[0:1], s[0:1], 0x20
	s_add_nc_u64 s[2:3], s[10:11], s[2:3]
	s_load_b64 s[2:3], s[2:3], 0x0
	s_delay_alu instid0(VALU_DEP_1) | instskip(NEXT) | instid1(VALU_DEP_1)
	v_sub_nc_u32_e32 v5, v1, v2
	v_lshrrev_b32_e32 v5, 1, v5
	s_delay_alu instid0(VALU_DEP_1) | instskip(SKIP_3) | instid1(VALU_DEP_3)
	v_add_nc_u32_e32 v2, v5, v2
	v_mul_hi_u32 v5, 0x7878788, v0
	s_wait_kmcnt 0x0
	v_cmp_gt_u64_e32 vcc_lo, s[0:1], v[9:10]
	v_lshrrev_b32_e32 v2, 2, v2
	v_mul_lo_u32 v7, s2, v10
	v_mul_lo_u32 v8, s3, v9
	s_delay_alu instid0(VALU_DEP_3) | instskip(SKIP_2) | instid1(VALU_DEP_1)
	v_mul_lo_u32 v6, v2, 7
	v_mad_co_u64_u32 v[2:3], null, s2, v9, v[3:4]
	v_mul_u32_u24_e32 v4, 34, v5
	v_sub_nc_u32_e32 v76, v0, v4
	s_delay_alu instid0(VALU_DEP_4) | instskip(NEXT) | instid1(VALU_DEP_4)
	v_sub_nc_u32_e32 v1, v1, v6
	v_add3_u32 v3, v8, v3, v7
	s_delay_alu instid0(VALU_DEP_3) | instskip(NEXT) | instid1(VALU_DEP_3)
	v_lshlrev_b32_e32 v209, 4, v76
	v_mul_u32_u24_e32 v1, 0x177, v1
	s_delay_alu instid0(VALU_DEP_3) | instskip(NEXT) | instid1(VALU_DEP_2)
	v_lshlrev_b64_e32 v[78:79], 4, v[2:3]
	v_lshlrev_b32_e32 v211, 4, v1
	s_and_saveexec_b32 s1, vcc_lo
	s_cbranch_execz .LBB0_10
; %bb.9:
	v_mov_b32_e32 v77, 0
	s_delay_alu instid0(VALU_DEP_3) | instskip(SKIP_2) | instid1(VALU_DEP_3)
	v_add_co_u32 v2, s0, s8, v78
	s_wait_alu 0xf1ff
	v_add_co_ci_u32_e64 v3, s0, s9, v79, s0
	v_lshlrev_b64_e32 v[0:1], 4, v[76:77]
	v_add3_u32 v44, 0, v211, v209
	s_delay_alu instid0(VALU_DEP_2) | instskip(SKIP_1) | instid1(VALU_DEP_3)
	v_add_co_u32 v40, s0, v2, v0
	s_wait_alu 0xf1ff
	v_add_co_ci_u32_e64 v41, s0, v3, v1, s0
	s_clause 0xa
	global_load_b128 v[0:3], v[40:41], off
	global_load_b128 v[4:7], v[40:41], off offset:544
	global_load_b128 v[8:11], v[40:41], off offset:1088
	;; [unrolled: 1-line block ×10, first 2 shown]
	s_wait_loadcnt 0xa
	ds_store_b128 v44, v[0:3]
	s_wait_loadcnt 0x9
	ds_store_b128 v44, v[4:7] offset:544
	s_wait_loadcnt 0x8
	ds_store_b128 v44, v[8:11] offset:1088
	s_wait_loadcnt 0x7
	ds_store_b128 v44, v[12:15] offset:1632
	s_wait_loadcnt 0x6
	ds_store_b128 v44, v[16:19] offset:2176
	s_wait_loadcnt 0x5
	ds_store_b128 v44, v[20:23] offset:2720
	s_wait_loadcnt 0x4
	ds_store_b128 v44, v[24:27] offset:3264
	s_wait_loadcnt 0x3
	ds_store_b128 v44, v[28:31] offset:3808
	s_wait_loadcnt 0x2
	ds_store_b128 v44, v[32:35] offset:4352
	s_wait_loadcnt 0x1
	ds_store_b128 v44, v[36:39] offset:4896
	s_wait_loadcnt 0x0
	ds_store_b128 v44, v[40:43] offset:5440
.LBB0_10:
	s_wait_alu 0xfffe
	s_or_b32 exec_lo, exec_lo, s1
	v_add3_u32 v77, 0, v209, v211
	global_wb scope:SCOPE_SE
	s_wait_dscnt 0x0
	s_barrier_signal -1
	s_barrier_wait -1
	global_inv scope:SCOPE_SE
	ds_load_b128 v[8:11], v77 offset:5632
	ds_load_b128 v[40:43], v77 offset:352
	v_add_nc_u32_e32 v210, 0, v211
	s_mov_b32 s12, 0x6c9a05f6
	s_mov_b32 s2, 0x6ed5f1bb
	;; [unrolled: 1-line block ×4, first 2 shown]
	v_add_nc_u32_e32 v208, v210, v209
	s_mov_b32 s13, 0xbfe9895b
	s_mov_b32 s3, 0xbfe348c8
	;; [unrolled: 1-line block ×4, first 2 shown]
	ds_load_b128 v[28:31], v208
	ds_load_b128 v[12:15], v77 offset:5280
	ds_load_b128 v[48:51], v77 offset:704
	;; [unrolled: 1-line block ×4, first 2 shown]
	s_mov_b32 s34, 0x923c349f
	s_mov_b32 s20, 0xc61f0d01
	;; [unrolled: 1-line block ×6, first 2 shown]
	s_wait_dscnt 0x5
	v_add_f64_e64 v[136:137], v[42:43], -v[10:11]
	v_add_f64_e32 v[132:133], v[42:43], v[10:11]
	v_add_f64_e32 v[134:135], v[40:41], v[8:9]
	v_add_f64_e64 v[142:143], v[40:41], -v[8:9]
	s_mov_b32 s17, 0x3fdc86fa
	s_mov_b32 s25, 0x3feca52d
	ds_load_b128 v[20:23], v77 offset:4576
	ds_load_b128 v[60:63], v77 offset:1408
	s_mov_b32 s36, 0x5d8e7cdc
	s_mov_b32 s14, 0x370991
	;; [unrolled: 1-line block ×5, first 2 shown]
	s_wait_dscnt 0x4
	v_add_f64_e64 v[128:129], v[50:51], -v[14:15]
	v_add_f64_e32 v[94:95], v[50:51], v[14:15]
	s_wait_dscnt 0x2
	v_add_f64_e64 v[130:131], v[54:55], -v[18:19]
	v_add_f64_e32 v[116:117], v[54:55], v[18:19]
	v_add_f64_e32 v[124:125], v[48:49], v[12:13]
	v_add_f64_e64 v[140:141], v[48:49], -v[12:13]
	s_mov_b32 s15, 0x3fedd6d0
	s_mov_b32 s19, 0x3fb79ee6
	;; [unrolled: 1-line block ×3, first 2 shown]
	v_add_f64_e32 v[118:119], v[52:53], v[16:17]
	v_add_f64_e64 v[138:139], v[52:53], -v[16:17]
	ds_load_b128 v[64:67], v77 offset:1760
	ds_load_b128 v[24:27], v77 offset:4224
	s_mov_b32 s39, 0x3fe9895b
	s_mov_b32 s38, s12
	s_wait_dscnt 0x2
	v_add_f64_e64 v[122:123], v[62:63], -v[22:23]
	v_add_f64_e32 v[108:109], v[62:63], v[22:23]
	v_add_f64_e32 v[110:111], v[60:61], v[20:21]
	v_add_f64_e64 v[126:127], v[60:61], -v[20:21]
	s_mov_b32 s45, 0x3fefdd0d
	s_mov_b32 s44, s28
	;; [unrolled: 1-line block ×8, first 2 shown]
	v_mul_f64_e32 v[154:155], s[12:13], v[136:137]
	s_wait_alu 0xfffe
	v_mul_f64_e32 v[156:157], s[2:3], v[132:133]
	v_mul_f64_e32 v[180:181], s[10:11], v[136:137]
	;; [unrolled: 1-line block ×3, first 2 shown]
	s_mov_b32 s23, 0xbfef7484
	s_wait_dscnt 0x0
	v_add_f64_e64 v[114:115], v[66:67], -v[26:27]
	v_add_f64_e32 v[90:91], v[66:67], v[26:27]
	v_add_f64_e32 v[98:99], v[64:65], v[24:25]
	v_add_f64_e64 v[120:121], v[64:65], -v[24:25]
	s_mov_b32 s31, 0xbfc7851a
	s_mov_b32 s41, 0x3fe58eea
	;; [unrolled: 1-line block ×3, first 2 shown]
	v_mul_f64_e32 v[162:163], s[34:35], v[128:129]
	v_mul_f64_e32 v[164:165], s[20:21], v[94:95]
	;; [unrolled: 1-line block ×8, first 2 shown]
	s_mov_b32 s43, 0xbfeec746
	s_mov_b32 s42, s34
	s_mov_b32 s33, exec_lo
	v_mul_f64_e32 v[146:147], s[10:11], v[122:123]
	v_mul_f64_e32 v[150:151], s[6:7], v[108:109]
	;; [unrolled: 1-line block ×4, first 2 shown]
	v_fma_f64 v[0:1], v[134:135], s[2:3], -v[154:155]
	v_fma_f64 v[2:3], v[142:143], s[12:13], v[156:157]
	v_fma_f64 v[4:5], v[134:135], s[6:7], -v[180:181]
	v_fma_f64 v[6:7], v[142:143], s[10:11], v[184:185]
	v_mul_f64_e32 v[144:145], s[44:45], v[114:115]
	v_mul_f64_e32 v[166:167], s[18:19], v[90:91]
	;; [unrolled: 1-line block ×4, first 2 shown]
	v_fma_f64 v[32:33], v[124:125], s[20:21], -v[162:163]
	v_fma_f64 v[34:35], v[140:141], s[34:35], v[164:165]
	v_fma_f64 v[36:37], v[124:125], s[16:17], -v[168:169]
	v_fma_f64 v[38:39], v[140:141], s[24:25], v[178:179]
	;; [unrolled: 2-line block ×6, first 2 shown]
	v_add_f64_e32 v[0:1], v[28:29], v[0:1]
	v_add_f64_e32 v[2:3], v[30:31], v[2:3]
	v_add_f64_e32 v[4:5], v[28:29], v[4:5]
	v_add_f64_e32 v[6:7], v[30:31], v[6:7]
	v_fma_f64 v[102:103], v[98:99], s[18:19], -v[144:145]
	v_fma_f64 v[170:171], v[120:121], s[44:45], v[166:167]
	v_fma_f64 v[196:197], v[98:99], s[14:15], -v[186:187]
	v_fma_f64 v[202:203], v[120:121], s[36:37], v[198:199]
	v_add_f64_e32 v[0:1], v[32:33], v[0:1]
	v_add_f64_e32 v[2:3], v[34:35], v[2:3]
	;; [unrolled: 1-line block ×4, first 2 shown]
	ds_load_b128 v[32:35], v77 offset:3872
	ds_load_b128 v[72:75], v77 offset:2112
	;; [unrolled: 1-line block ×4, first 2 shown]
	s_wait_dscnt 0x2
	v_add_f64_e64 v[104:105], v[74:75], -v[34:35]
	v_add_f64_e32 v[86:87], v[74:75], v[34:35]
	v_add_f64_e32 v[92:93], v[72:73], v[32:33]
	v_add_f64_e64 v[112:113], v[72:73], -v[32:33]
	s_wait_dscnt 0x0
	v_add_f64_e64 v[100:101], v[70:71], -v[38:39]
	v_add_f64_e32 v[82:83], v[70:71], v[38:39]
	v_add_f64_e64 v[106:107], v[68:69], -v[36:37]
	v_add_f64_e32 v[0:1], v[44:45], v[0:1]
	v_add_f64_e32 v[2:3], v[46:47], v[2:3]
	;; [unrolled: 1-line block ×4, first 2 shown]
	ds_load_b128 v[56:59], v77 offset:2816
	ds_load_b128 v[44:47], v77 offset:3168
	global_wb scope:SCOPE_SE
	s_wait_dscnt 0x0
	s_barrier_signal -1
	s_barrier_wait -1
	global_inv scope:SCOPE_SE
	v_mul_f64_e32 v[148:149], s[46:47], v[104:105]
	v_mul_f64_e32 v[174:175], s[26:27], v[86:87]
	;; [unrolled: 1-line block ×3, first 2 shown]
	s_wait_alu 0xfffe
	v_mul_f64_e32 v[200:201], s[22:23], v[86:87]
	v_mul_f64_e32 v[160:161], s[30:31], v[100:101]
	;; [unrolled: 1-line block ×5, first 2 shown]
	v_add_f64_e32 v[0:1], v[80:81], v[0:1]
	v_add_f64_e32 v[2:3], v[84:85], v[2:3]
	;; [unrolled: 1-line block ×5, first 2 shown]
	v_add_f64_e64 v[96:97], v[58:59], -v[46:47]
	v_add_f64_e32 v[80:81], v[58:59], v[46:47]
	v_add_f64_e32 v[84:85], v[56:57], v[44:45]
	v_fma_f64 v[212:213], v[92:93], s[26:27], -v[148:149]
	v_fma_f64 v[214:215], v[112:113], s[46:47], v[174:175]
	v_fma_f64 v[216:217], v[92:93], s[22:23], -v[190:191]
	v_fma_f64 v[218:219], v[112:113], s[30:31], v[200:201]
	v_fma_f64 v[222:223], v[106:107], s[30:31], v[182:183]
	;; [unrolled: 1-line block ×3, first 2 shown]
	v_add_f64_e32 v[0:1], v[102:103], v[0:1]
	v_add_f64_e32 v[2:3], v[170:171], v[2:3]
	;; [unrolled: 1-line block ×4, first 2 shown]
	v_add_f64_e64 v[102:103], v[56:57], -v[44:45]
	v_mul_f64_e32 v[170:171], s[24:25], v[96:97]
	v_mul_f64_e32 v[196:197], s[16:17], v[80:81]
	;; [unrolled: 1-line block ×4, first 2 shown]
	v_fma_f64 v[220:221], v[88:89], s[22:23], -v[160:161]
	v_fma_f64 v[224:225], v[88:89], s[26:27], -v[194:195]
	v_add_f64_e32 v[0:1], v[212:213], v[0:1]
	v_add_f64_e32 v[2:3], v[214:215], v[2:3]
	;; [unrolled: 1-line block ×4, first 2 shown]
	v_fma_f64 v[212:213], v[84:85], s[16:17], -v[170:171]
	v_fma_f64 v[214:215], v[102:103], s[24:25], v[196:197]
	v_fma_f64 v[216:217], v[84:85], s[20:21], -v[202:203]
	v_fma_f64 v[218:219], v[102:103], s[42:43], v[206:207]
	v_add_f64_e32 v[0:1], v[220:221], v[0:1]
	v_add_f64_e32 v[2:3], v[222:223], v[2:3]
	;; [unrolled: 1-line block ×4, first 2 shown]
	s_delay_alu instid0(VALU_DEP_4) | instskip(NEXT) | instid1(VALU_DEP_4)
	v_add_f64_e32 v[4:5], v[212:213], v[0:1]
	v_add_f64_e32 v[6:7], v[214:215], v[2:3]
	s_delay_alu instid0(VALU_DEP_4) | instskip(NEXT) | instid1(VALU_DEP_4)
	v_add_f64_e32 v[0:1], v[216:217], v[220:221]
	v_add_f64_e32 v[2:3], v[218:219], v[222:223]
	v_cmpx_gt_u32_e32 22, v76
	s_cbranch_execz .LBB0_12
; %bb.11:
	v_add_f64_e32 v[42:43], v[30:31], v[42:43]
	v_add_f64_e32 v[40:41], v[28:29], v[40:41]
	s_mov_b32 s1, 0x3fd71e95
	s_mov_b32 s0, s36
	s_mov_b32 s51, 0x3fe0d888
	s_mov_b32 s50, s10
	v_mul_f64_e32 v[212:213], s[36:37], v[120:121]
	v_mul_f64_e32 v[216:217], s[38:39], v[126:127]
	;; [unrolled: 1-line block ×10, first 2 shown]
	s_wait_alu 0xfffe
	v_mul_f64_e32 v[234:235], s[0:1], v[140:141]
	v_mul_f64_e32 v[236:237], s[0:1], v[128:129]
	;; [unrolled: 1-line block ×5, first 2 shown]
	s_mov_b32 s49, 0xbfeca52d
	s_mov_b32 s48, s24
	v_mul_f64_e32 v[214:215], s[46:47], v[142:143]
	v_add_f64_e32 v[42:43], v[42:43], v[50:51]
	v_add_f64_e32 v[40:41], v[40:41], v[48:49]
	v_mul_f64_e32 v[48:49], s[30:31], v[142:143]
	v_mul_f64_e32 v[50:51], s[30:31], v[136:137]
	v_add_f64_e64 v[198:199], v[198:199], -v[212:213]
	v_add_f64_e64 v[192:193], v[192:193], -v[216:217]
	v_add_f64_e64 v[188:189], v[188:189], -v[218:219]
	v_add_f64_e64 v[178:179], v[178:179], -v[220:221]
	v_mul_f64_e32 v[212:213], s[10:11], v[138:139]
	v_add_f64_e32 v[186:187], v[228:229], v[186:187]
	v_add_f64_e32 v[176:177], v[230:231], v[176:177]
	v_mul_f64_e32 v[230:231], s[36:37], v[138:139]
	v_fma_f64 v[220:221], v[94:95], s[14:15], -v[234:235]
	v_fma_f64 v[216:217], v[124:125], s[14:15], -v[236:237]
	v_add_f64_e32 v[172:173], v[232:233], v[172:173]
	v_mul_f64_e32 v[232:233], s[14:15], v[118:119]
	v_add_f64_e32 v[168:169], v[244:245], v[168:169]
	v_add_f64_e32 v[42:43], v[42:43], v[54:55]
	;; [unrolled: 1-line block ×3, first 2 shown]
	v_mul_f64_e32 v[52:53], s[10:11], v[142:143]
	v_mul_f64_e32 v[54:55], s[6:7], v[134:135]
	v_fma_f64 v[238:239], v[132:133], s[22:23], v[48:49]
	v_fma_f64 v[242:243], v[134:135], s[22:23], -v[50:51]
	v_fma_f64 v[48:49], v[132:133], s[22:23], -v[48:49]
	v_fma_f64 v[248:249], v[134:135], s[22:23], v[50:51]
	v_add_f64_e64 v[158:159], v[158:159], -v[230:231]
	v_mul_f64_e32 v[230:231], s[6:7], v[110:111]
	v_add_f64_e32 v[152:153], v[232:233], v[152:153]
	v_mul_f64_e32 v[232:233], s[48:49], v[122:123]
	v_add_f64_e32 v[42:43], v[42:43], v[62:63]
	v_add_f64_e32 v[40:41], v[40:41], v[60:61]
	v_mul_f64_e32 v[60:61], s[12:13], v[142:143]
	v_mul_f64_e32 v[62:63], s[2:3], v[134:135]
	v_add_f64_e64 v[184:185], v[184:185], -v[52:53]
	v_add_f64_e32 v[180:181], v[54:55], v[180:181]
	v_add_f64_e32 v[54:55], v[224:225], v[194:195]
	v_add_f64_e32 v[194:195], v[30:31], v[238:239]
	v_add_f64_e32 v[218:219], v[28:29], v[242:243]
	v_add_f64_e32 v[228:229], v[28:29], v[248:249]
	v_mul_f64_e32 v[238:239], s[40:41], v[130:131]
	v_mul_f64_e32 v[224:225], s[10:11], v[126:127]
	v_add_f64_e32 v[146:147], v[230:231], v[146:147]
	v_add_f64_e32 v[42:43], v[42:43], v[66:67]
	;; [unrolled: 1-line block ×3, first 2 shown]
	v_mul_f64_e32 v[64:65], s[42:43], v[102:103]
	v_mul_f64_e32 v[66:67], s[40:41], v[106:107]
	v_add_f64_e64 v[60:61], v[156:157], -v[60:61]
	v_add_f64_e32 v[62:63], v[62:63], v[154:155]
	v_mul_f64_e32 v[156:157], s[46:47], v[112:113]
	v_mul_f64_e32 v[154:155], s[44:45], v[120:121]
	v_add_f64_e32 v[184:185], v[30:31], v[184:185]
	v_add_f64_e32 v[180:181], v[28:29], v[180:181]
	v_add_f64_e32 v[216:217], v[216:217], v[218:219]
	v_add_f64_e64 v[150:151], v[150:151], -v[224:225]
	v_mul_f64_e32 v[224:225], s[26:27], v[92:93]
	v_add_f64_e32 v[42:43], v[42:43], v[74:75]
	v_add_f64_e32 v[40:41], v[40:41], v[72:73]
	v_mul_f64_e32 v[74:75], s[30:31], v[112:113]
	v_mul_f64_e32 v[72:73], s[28:29], v[142:143]
	v_add_f64_e64 v[50:51], v[204:205], -v[66:67]
	v_mul_f64_e32 v[66:67], s[20:21], v[124:125]
	v_mul_f64_e32 v[204:205], s[50:51], v[128:129]
	v_add_f64_e32 v[62:63], v[28:29], v[62:63]
	v_add_f64_e64 v[156:157], v[174:175], -v[156:157]
	v_add_f64_e64 v[154:155], v[166:167], -v[154:155]
	v_mul_f64_e32 v[166:167], s[22:23], v[88:89]
	v_add_f64_e32 v[178:179], v[178:179], v[184:185]
	v_mul_f64_e32 v[184:185], s[28:29], v[136:137]
	v_add_f64_e32 v[168:169], v[168:169], v[180:181]
	;; [unrolled: 2-line block ×4, first 2 shown]
	v_add_f64_e32 v[40:41], v[40:41], v[68:69]
	v_mul_f64_e32 v[68:69], s[42:43], v[142:143]
	v_mul_f64_e32 v[70:71], s[42:43], v[136:137]
	v_add_f64_e64 v[52:53], v[200:201], -v[74:75]
	v_mul_f64_e32 v[74:75], s[50:51], v[140:141]
	v_add_f64_e32 v[66:67], v[66:67], v[162:163]
	v_fma_f64 v[174:175], v[124:125], s[6:7], v[204:205]
	v_add_f64_e32 v[160:161], v[166:167], v[160:161]
	v_mul_f64_e32 v[166:167], s[30:31], v[128:129]
	v_add_f64_e32 v[178:179], v[188:189], v[178:179]
	v_mul_f64_e32 v[188:189], s[30:31], v[120:121]
	v_add_f64_e32 v[168:169], v[172:173], v[168:169]
	v_fma_f64 v[172:173], v[134:135], s[18:19], -v[184:185]
	v_fma_f64 v[230:231], v[116:117], s[20:21], v[180:181]
	v_fma_f64 v[184:185], v[134:135], s[18:19], v[184:185]
	v_fma_f64 v[180:181], v[116:117], s[20:21], -v[180:181]
	v_add_f64_e32 v[240:241], v[42:43], v[58:59]
	v_add_f64_e32 v[56:57], v[40:41], v[56:57]
	v_add_f64_e64 v[40:41], v[206:207], -v[64:65]
	v_mul_f64_e32 v[64:65], s[34:35], v[140:141]
	v_fma_f64 v[200:201], v[132:133], s[20:21], v[68:69]
	v_fma_f64 v[206:207], v[134:135], s[20:21], -v[70:71]
	v_fma_f64 v[68:69], v[132:133], s[20:21], -v[68:69]
	v_fma_f64 v[70:71], v[134:135], s[20:21], v[70:71]
	v_add_f64_e32 v[42:43], v[222:223], v[202:203]
	v_mul_f64_e32 v[202:203], s[10:11], v[130:131]
	v_add_f64_e32 v[58:59], v[226:227], v[190:191]
	v_fma_f64 v[190:191], v[94:95], s[14:15], v[234:235]
	v_add_f64_e32 v[222:223], v[30:31], v[48:49]
	v_fma_f64 v[226:227], v[124:125], s[14:15], v[236:237]
	v_mul_f64_e32 v[234:235], s[30:31], v[140:141]
	v_add_f64_e64 v[48:49], v[196:197], -v[246:247]
	v_mul_f64_e32 v[196:197], s[40:41], v[138:139]
	v_fma_f64 v[236:237], v[132:133], s[18:19], v[72:73]
	v_fma_f64 v[162:163], v[94:95], s[6:7], v[74:75]
	v_fma_f64 v[74:75], v[94:95], s[6:7], -v[74:75]
	v_add_f64_e32 v[62:63], v[66:67], v[62:63]
	v_fma_f64 v[72:73], v[132:133], s[18:19], -v[72:73]
	v_add_f64_e32 v[178:179], v[192:193], v[178:179]
	v_add_f64_e32 v[168:169], v[176:177], v[168:169]
	v_fma_f64 v[176:177], v[124:125], s[22:23], -v[166:167]
	v_add_f64_e32 v[172:173], v[28:29], v[172:173]
	v_fma_f64 v[192:193], v[132:133], s[26:27], v[214:215]
	v_fma_f64 v[214:215], v[132:133], s[26:27], -v[214:215]
	v_fma_f64 v[166:167], v[124:125], s[22:23], v[166:167]
	v_add_f64_e32 v[184:185], v[28:29], v[184:185]
	v_add_f64_e32 v[46:47], v[240:241], v[46:47]
	;; [unrolled: 1-line block ×3, first 2 shown]
	v_fma_f64 v[44:45], v[124:125], s[6:7], -v[204:205]
	v_add_f64_e64 v[64:65], v[164:165], -v[64:65]
	v_add_f64_e32 v[164:165], v[30:31], v[60:61]
	v_add_f64_e32 v[200:201], v[30:31], v[200:201]
	;; [unrolled: 1-line block ×5, first 2 shown]
	v_add_f64_e64 v[60:61], v[182:183], -v[250:251]
	v_mul_f64_e32 v[182:183], s[16:17], v[84:85]
	v_mul_f64_e32 v[204:205], s[40:41], v[126:127]
	v_add_f64_e32 v[190:191], v[190:191], v[194:195]
	v_fma_f64 v[194:195], v[116:117], s[6:7], v[212:213]
	v_fma_f64 v[218:219], v[118:119], s[6:7], -v[202:203]
	v_add_f64_e32 v[220:221], v[220:221], v[222:223]
	v_mul_f64_e32 v[222:223], s[40:41], v[122:123]
	v_fma_f64 v[212:213], v[116:117], s[6:7], -v[212:213]
	v_add_f64_e32 v[226:227], v[226:227], v[228:229]
	v_fma_f64 v[202:203], v[118:119], s[6:7], v[202:203]
	v_fma_f64 v[66:67], v[94:95], s[22:23], v[234:235]
	v_add_f64_e32 v[236:237], v[30:31], v[236:237]
	v_fma_f64 v[240:241], v[118:119], s[26:27], -v[238:239]
	v_fma_f64 v[238:239], v[118:119], s[26:27], v[238:239]
	v_add_f64_e32 v[152:153], v[152:153], v[62:63]
	v_mul_f64_e32 v[62:63], s[0:1], v[126:127]
	v_mul_f64_e32 v[228:229], s[36:37], v[142:143]
	;; [unrolled: 1-line block ×3, first 2 shown]
	v_add_f64_e32 v[178:179], v[198:199], v[178:179]
	v_mul_f64_e32 v[198:199], s[34:35], v[130:131]
	v_add_f64_e32 v[168:169], v[186:187], v[168:169]
	v_mul_f64_e32 v[186:187], s[12:13], v[140:141]
	;; [unrolled: 2-line block ×3, first 2 shown]
	v_fma_f64 v[234:235], v[94:95], s[22:23], -v[234:235]
	v_add_f64_e32 v[72:73], v[30:31], v[72:73]
	v_add_f64_e32 v[166:167], v[166:167], v[184:185]
	;; [unrolled: 1-line block ×6, first 2 shown]
	v_mul_f64_e32 v[56:57], s[12:13], v[102:103]
	v_add_f64_e32 v[64:65], v[64:65], v[164:165]
	v_mul_f64_e32 v[164:165], s[48:49], v[126:127]
	v_add_f64_e32 v[162:163], v[162:163], v[200:201]
	v_fma_f64 v[200:201], v[116:117], s[26:27], v[196:197]
	v_add_f64_e32 v[206:207], v[44:45], v[206:207]
	v_add_f64_e32 v[68:69], v[74:75], v[68:69]
	v_fma_f64 v[196:197], v[116:117], s[26:27], -v[196:197]
	v_add_f64_e32 v[70:71], v[174:175], v[70:71]
	v_mul_f64_e32 v[74:75], s[18:19], v[98:99]
	v_mul_f64_e32 v[174:175], s[12:13], v[120:121]
	v_add_f64_e32 v[44:45], v[182:183], v[170:171]
	v_mul_f64_e32 v[170:171], s[12:13], v[114:115]
	v_add_f64_e32 v[182:183], v[194:195], v[190:191]
	v_fma_f64 v[190:191], v[108:109], s[26:27], v[204:205]
	v_add_f64_e32 v[194:195], v[218:219], v[216:217]
	v_fma_f64 v[216:217], v[110:111], s[26:27], -v[222:223]
	v_add_f64_e32 v[212:213], v[212:213], v[220:221]
	v_fma_f64 v[204:205], v[108:109], s[26:27], -v[204:205]
	v_fma_f64 v[220:221], v[110:111], s[26:27], v[222:223]
	v_add_f64_e32 v[202:203], v[202:203], v[226:227]
	v_mul_f64_e32 v[226:227], s[30:31], v[114:115]
	v_add_f64_e32 v[66:67], v[66:67], v[236:237]
	v_fma_f64 v[236:237], v[110:111], s[16:17], -v[232:233]
	v_fma_f64 v[232:233], v[110:111], s[16:17], v[232:233]
	v_mul_f64_e32 v[218:219], s[46:47], v[136:137]
	v_mul_f64_e32 v[222:223], s[36:37], v[136:137]
	;; [unrolled: 1-line block ×3, first 2 shown]
	v_add_f64_e32 v[146:147], v[146:147], v[152:153]
	v_fma_f64 v[152:153], v[90:91], s[22:23], v[188:189]
	v_fma_f64 v[188:189], v[90:91], s[22:23], -v[188:189]
	v_add_f64_e32 v[52:53], v[52:53], v[178:179]
	v_add_f64_e32 v[58:59], v[58:59], v[168:169]
	;; [unrolled: 1-line block ×3, first 2 shown]
	v_fma_f64 v[234:235], v[94:95], s[2:3], v[186:187]
	v_fma_f64 v[186:187], v[94:95], s[2:3], -v[186:187]
	v_add_f64_e32 v[34:35], v[38:39], v[34:35]
	v_add_f64_e32 v[32:33], v[36:37], v[32:33]
	v_mul_f64_e32 v[36:37], s[50:51], v[120:121]
	v_add_f64_e32 v[64:65], v[158:159], v[64:65]
	v_mul_f64_e32 v[158:159], s[24:25], v[112:113]
	v_mul_f64_e32 v[38:39], s[40:41], v[114:115]
	v_add_f64_e32 v[162:163], v[200:201], v[162:163]
	v_fma_f64 v[200:201], v[108:109], s[16:17], v[164:165]
	v_add_f64_e32 v[206:207], v[240:241], v[206:207]
	v_fma_f64 v[164:165], v[108:109], s[16:17], -v[164:165]
	v_add_f64_e32 v[68:69], v[196:197], v[68:69]
	v_add_f64_e32 v[70:71], v[238:239], v[70:71]
	v_mul_f64_e32 v[238:239], s[44:45], v[104:105]
	v_add_f64_e32 v[74:75], v[74:75], v[144:145]
	v_mul_f64_e32 v[196:197], s[44:45], v[112:113]
	v_mul_f64_e32 v[144:145], s[42:43], v[106:107]
	v_add_f64_e32 v[182:183], v[190:191], v[182:183]
	v_fma_f64 v[190:191], v[90:91], s[2:3], v[174:175]
	v_add_f64_e32 v[194:195], v[216:217], v[194:195]
	v_fma_f64 v[216:217], v[98:99], s[2:3], -v[170:171]
	v_fma_f64 v[174:175], v[90:91], s[2:3], -v[174:175]
	v_add_f64_e32 v[204:205], v[204:205], v[212:213]
	v_add_f64_e32 v[202:203], v[220:221], v[202:203]
	v_fma_f64 v[170:171], v[98:99], s[2:3], v[170:171]
	v_add_f64_e32 v[66:67], v[230:231], v[66:67]
	v_fma_f64 v[230:231], v[108:109], s[14:15], v[62:63]
	v_mul_f64_e32 v[212:213], s[42:43], v[100:101]
	v_fma_f64 v[62:63], v[108:109], s[14:15], -v[62:63]
	v_mul_f64_e32 v[220:221], s[36:37], v[106:107]
	v_add_f64_e32 v[50:51], v[50:51], v[52:53]
	v_add_f64_e32 v[52:53], v[54:55], v[58:59]
	;; [unrolled: 1-line block ×5, first 2 shown]
	v_mul_f64_e32 v[32:33], s[34:35], v[104:105]
	v_add_f64_e32 v[64:65], v[150:151], v[64:65]
	v_fma_f64 v[150:151], v[132:133], s[14:15], v[228:229]
	v_fma_f64 v[228:229], v[132:133], s[14:15], -v[228:229]
	v_fma_f64 v[34:35], v[98:99], s[26:27], v[38:39]
	v_add_f64_e32 v[162:163], v[200:201], v[162:163]
	v_fma_f64 v[200:201], v[98:99], s[22:23], -v[226:227]
	v_add_f64_e32 v[206:207], v[236:237], v[206:207]
	v_add_f64_e32 v[68:69], v[164:165], v[68:69]
	v_mul_f64_e32 v[164:165], s[48:49], v[120:121]
	v_add_f64_e32 v[70:71], v[232:233], v[70:71]
	v_fma_f64 v[226:227], v[98:99], s[22:23], v[226:227]
	v_fma_f64 v[236:237], v[132:133], s[16:17], v[142:143]
	v_fma_f64 v[132:133], v[132:133], s[16:17], -v[142:143]
	v_mul_f64_e32 v[142:143], s[36:37], v[100:101]
	v_add_f64_e32 v[182:183], v[190:191], v[182:183]
	v_add_f64_e32 v[74:75], v[74:75], v[146:147]
	;; [unrolled: 1-line block ×3, first 2 shown]
	v_fma_f64 v[216:217], v[86:87], s[16:17], v[158:159]
	v_add_f64_e32 v[174:175], v[174:175], v[204:205]
	v_fma_f64 v[204:205], v[92:93], s[16:17], -v[224:225]
	v_fma_f64 v[158:159], v[86:87], s[16:17], -v[158:159]
	v_fma_f64 v[224:225], v[92:93], s[16:17], v[224:225]
	v_add_f64_e32 v[170:171], v[170:171], v[202:203]
	v_fma_f64 v[202:203], v[134:135], s[16:17], -v[136:137]
	v_add_f64_e32 v[66:67], v[230:231], v[66:67]
	v_fma_f64 v[232:233], v[134:135], s[26:27], -v[218:219]
	v_fma_f64 v[218:219], v[134:135], s[26:27], v[218:219]
	v_fma_f64 v[190:191], v[134:135], s[14:15], -v[222:223]
	v_fma_f64 v[222:223], v[134:135], s[14:15], v[222:223]
	v_fma_f64 v[134:135], v[134:135], s[16:17], v[136:137]
	;; [unrolled: 1-line block ×3, first 2 shown]
	v_fma_f64 v[196:197], v[86:87], s[18:19], -v[196:197]
	v_mul_f64_e32 v[146:147], s[44:45], v[102:103]
	v_fma_f64 v[178:179], v[82:83], s[20:21], v[144:145]
	v_fma_f64 v[168:169], v[88:89], s[20:21], -v[212:213]
	v_fma_f64 v[144:145], v[82:83], s[20:21], -v[144:145]
	v_fma_f64 v[212:213], v[88:89], s[20:21], v[212:213]
	v_mul_f64_e32 v[136:137], s[10:11], v[112:113]
	v_add_f64_e32 v[64:65], v[154:155], v[64:65]
	v_mul_f64_e32 v[154:155], s[28:29], v[140:141]
	v_mul_f64_e32 v[140:141], s[46:47], v[140:141]
	v_add_f64_e32 v[150:151], v[30:31], v[150:151]
	v_add_f64_e32 v[152:153], v[152:153], v[162:163]
	v_fma_f64 v[162:163], v[92:93], s[18:19], -v[238:239]
	v_add_f64_e32 v[200:201], v[200:201], v[206:207]
	v_add_f64_e32 v[68:69], v[188:189], v[68:69]
	v_fma_f64 v[188:189], v[90:91], s[16:17], v[164:165]
	v_mul_f64_e32 v[206:207], s[28:29], v[128:129]
	v_mul_f64_e32 v[128:129], s[46:47], v[128:129]
	v_add_f64_e32 v[70:71], v[226:227], v[70:71]
	v_fma_f64 v[238:239], v[92:93], s[18:19], v[238:239]
	v_mul_f64_e32 v[226:227], s[44:45], v[96:97]
	s_mov_b32 s45, 0x3fc7851a
	s_mov_b32 s44, s30
	v_add_f64_e32 v[74:75], v[148:149], v[74:75]
	v_add_f64_e32 v[182:183], v[216:217], v[182:183]
	v_mul_f64_e32 v[216:217], s[12:13], v[138:139]
	v_fma_f64 v[148:149], v[88:89], s[14:15], -v[142:143]
	v_add_f64_e32 v[158:159], v[158:159], v[174:175]
	s_wait_alu 0xfffe
	v_mul_f64_e32 v[174:175], s[44:45], v[138:139]
	v_add_f64_e32 v[170:171], v[224:225], v[170:171]
	v_mul_f64_e32 v[224:225], s[44:45], v[130:131]
	v_add_f64_e32 v[236:237], v[30:31], v[236:237]
	v_add_f64_e32 v[202:203], v[28:29], v[202:203]
	;; [unrolled: 1-line block ×5, first 2 shown]
	v_mul_f64_e32 v[204:205], s[12:13], v[130:131]
	v_mul_f64_e32 v[138:139], s[48:49], v[138:139]
	;; [unrolled: 1-line block ×3, first 2 shown]
	v_add_f64_e32 v[232:233], v[28:29], v[232:233]
	v_add_f64_e32 v[218:219], v[28:29], v[218:219]
	v_add_f64_e32 v[190:191], v[28:29], v[190:191]
	v_add_f64_e32 v[222:223], v[28:29], v[222:223]
	v_add_f64_e32 v[28:29], v[28:29], v[134:135]
	v_fma_f64 v[164:165], v[90:91], s[16:17], -v[164:165]
	v_add_f64_e32 v[64:65], v[156:157], v[64:65]
	v_fma_f64 v[184:185], v[94:95], s[18:19], -v[154:155]
	v_fma_f64 v[154:155], v[94:95], s[18:19], v[154:155]
	v_fma_f64 v[132:133], v[94:95], s[26:27], -v[140:141]
	v_fma_f64 v[94:95], v[94:95], s[26:27], v[140:141]
	v_add_f64_e32 v[62:63], v[62:63], v[72:73]
	v_add_f64_e32 v[162:163], v[162:163], v[200:201]
	v_fma_f64 v[200:201], v[118:119], s[20:21], -v[198:199]
	v_fma_f64 v[198:199], v[118:119], s[20:21], v[198:199]
	v_add_f64_e32 v[66:67], v[188:189], v[66:67]
	v_fma_f64 v[188:189], v[124:125], s[2:3], -v[176:177]
	v_fma_f64 v[176:177], v[124:125], s[2:3], v[176:177]
	v_fma_f64 v[134:135], v[124:125], s[18:19], v[206:207]
	v_add_f64_e32 v[68:69], v[196:197], v[68:69]
	v_fma_f64 v[196:197], v[124:125], s[26:27], v[128:129]
	v_add_f64_e32 v[46:47], v[238:239], v[70:71]
	v_fma_f64 v[70:71], v[124:125], s[18:19], -v[206:207]
	v_fma_f64 v[124:125], v[124:125], s[26:27], -v[128:129]
	v_add_f64_e32 v[178:179], v[178:179], v[182:183]
	v_add_f64_e32 v[58:59], v[160:161], v[74:75]
	;; [unrolled: 1-line block ×3, first 2 shown]
	v_fma_f64 v[128:129], v[116:117], s[22:23], v[174:175]
	v_add_f64_e32 v[158:159], v[212:213], v[170:171]
	v_mul_f64_e32 v[170:171], s[34:35], v[126:127]
	v_fma_f64 v[180:181], v[118:119], s[22:23], -v[224:225]
	v_fma_f64 v[174:175], v[116:117], s[22:23], -v[174:175]
	v_fma_f64 v[182:183], v[116:117], s[2:3], -v[216:217]
	v_add_f64_e32 v[30:31], v[186:187], v[30:31]
	v_mul_f64_e32 v[186:187], s[30:31], v[126:127]
	v_add_f64_e32 v[168:169], v[168:169], v[194:195]
	v_mul_f64_e32 v[126:127], s[28:29], v[126:127]
	v_fma_f64 v[194:195], v[116:117], s[16:17], -v[138:139]
	v_fma_f64 v[38:39], v[98:99], s[26:27], -v[38:39]
	v_add_f64_e32 v[22:23], v[26:27], v[22:23]
	v_add_f64_e32 v[20:21], v[24:25], v[20:21]
	v_fma_f64 v[156:157], v[82:83], s[14:15], v[220:221]
	v_add_f64_e32 v[152:153], v[230:231], v[152:153]
	v_fma_f64 v[230:231], v[86:87], s[6:7], v[136:137]
	v_add_f64_e32 v[54:55], v[60:61], v[64:65]
	v_add_f64_e32 v[184:185], v[184:185], v[214:215]
	;; [unrolled: 1-line block ×3, first 2 shown]
	v_mul_f64_e32 v[192:193], s[30:31], v[122:123]
	v_add_f64_e32 v[132:133], v[132:133], v[228:229]
	v_add_f64_e32 v[94:95], v[94:95], v[150:151]
	;; [unrolled: 1-line block ×5, first 2 shown]
	v_mul_f64_e32 v[162:163], s[0:1], v[122:123]
	v_add_f64_e32 v[166:167], v[234:235], v[236:237]
	v_add_f64_e32 v[172:173], v[188:189], v[202:203]
	v_fma_f64 v[188:189], v[118:119], s[22:23], v[224:225]
	v_add_f64_e32 v[28:29], v[176:177], v[28:29]
	v_fma_f64 v[176:177], v[116:117], s[2:3], v[216:217]
	v_fma_f64 v[198:199], v[118:119], s[2:3], v[204:205]
	v_add_f64_e32 v[134:135], v[134:135], v[218:219]
	v_mul_f64_e32 v[200:201], s[28:29], v[122:123]
	v_add_f64_e32 v[196:197], v[196:197], v[222:223]
	v_fma_f64 v[202:203], v[118:119], s[16:17], v[130:131]
	v_mul_f64_e32 v[122:123], s[34:35], v[122:123]
	v_add_f64_e32 v[70:71], v[70:71], v[232:233]
	v_fma_f64 v[204:205], v[118:119], s[2:3], -v[204:205]
	v_fma_f64 v[116:117], v[116:117], s[16:17], v[138:139]
	v_fma_f64 v[118:119], v[118:119], s[16:17], -v[130:131]
	v_add_f64_e32 v[124:125], v[124:125], v[190:191]
	v_mul_f64_e32 v[190:191], s[48:49], v[114:115]
	v_add_f64_e32 v[30:31], v[174:175], v[30:31]
	v_fma_f64 v[174:175], v[108:109], s[20:21], -v[170:171]
	v_fma_f64 v[170:171], v[108:109], s[20:21], v[170:171]
	v_mul_f64_e32 v[140:141], s[38:39], v[106:107]
	v_add_f64_e32 v[62:63], v[164:165], v[62:63]
	v_fma_f64 v[142:143], v[88:89], s[14:15], v[142:143]
	v_add_f64_e32 v[18:19], v[22:23], v[18:19]
	v_add_f64_e32 v[16:17], v[20:21], v[16:17]
	v_mul_f64_e32 v[150:151], s[40:41], v[102:103]
	v_add_f64_e32 v[60:61], v[156:157], v[152:153]
	v_mul_f64_e32 v[152:153], s[12:13], v[96:97]
	v_add_f64_e32 v[66:67], v[230:231], v[66:67]
	v_add_f64_e32 v[182:183], v[182:183], v[184:185]
	v_fma_f64 v[184:185], v[108:109], s[22:23], -v[186:187]
	v_fma_f64 v[186:187], v[108:109], s[22:23], v[186:187]
	v_add_f64_e32 v[132:133], v[194:195], v[132:133]
	v_mul_f64_e32 v[194:195], s[42:43], v[114:115]
	v_mul_f64_e32 v[114:115], s[50:51], v[114:115]
	v_fma_f64 v[214:215], v[82:83], s[14:15], -v[220:221]
	v_fma_f64 v[212:213], v[80:81], s[2:3], v[56:57]
	v_fma_f64 v[56:57], v[80:81], s[2:3], -v[56:57]
	v_add_f64_e32 v[128:129], v[128:129], v[166:167]
	v_fma_f64 v[166:167], v[110:111], s[14:15], -v[162:163]
	v_add_f64_e32 v[172:173], v[180:181], v[172:173]
	v_mul_f64_e32 v[180:181], s[40:41], v[120:121]
	v_add_f64_e32 v[28:29], v[188:189], v[28:29]
	v_add_f64_e32 v[154:155], v[176:177], v[154:155]
	v_fma_f64 v[176:177], v[110:111], s[22:23], v[192:193]
	v_fma_f64 v[188:189], v[108:109], s[18:19], -v[126:127]
	v_mul_f64_e32 v[120:121], s[42:43], v[120:121]
	v_add_f64_e32 v[134:135], v[198:199], v[134:135]
	v_fma_f64 v[198:199], v[110:111], s[18:19], v[200:201]
	v_add_f64_e32 v[196:197], v[202:203], v[196:197]
	v_fma_f64 v[202:203], v[110:111], s[20:21], v[122:123]
	v_fma_f64 v[162:163], v[110:111], s[14:15], v[162:163]
	v_fma_f64 v[122:123], v[110:111], s[20:21], -v[122:123]
	v_add_f64_e32 v[70:71], v[204:205], v[70:71]
	v_fma_f64 v[192:193], v[110:111], s[22:23], -v[192:193]
	v_fma_f64 v[108:109], v[108:109], s[18:19], v[126:127]
	v_add_f64_e32 v[94:95], v[116:117], v[94:95]
	v_fma_f64 v[110:111], v[110:111], s[18:19], -v[200:201]
	v_add_f64_e32 v[118:119], v[118:119], v[124:125]
	v_fma_f64 v[124:125], v[98:99], s[16:17], -v[190:191]
	v_add_f64_e32 v[30:31], v[174:175], v[30:31]
	v_mul_f64_e32 v[174:175], s[34:35], v[112:113]
	v_mul_f64_e32 v[116:117], s[10:11], v[104:105]
	v_fma_f64 v[72:73], v[98:99], s[16:17], v[190:191]
	v_mul_f64_e32 v[190:191], s[36:37], v[104:105]
	v_mul_f64_e32 v[104:105], s[12:13], v[104:105]
	;; [unrolled: 1-line block ×3, first 2 shown]
	v_fma_f64 v[130:131], v[82:83], s[2:3], v[140:141]
	v_add_f64_e32 v[182:183], v[184:185], v[182:183]
	v_fma_f64 v[184:185], v[90:91], s[6:7], -v[36:37]
	v_fma_f64 v[36:37], v[90:91], s[6:7], v[36:37]
	v_mul_f64_e32 v[204:205], s[40:41], v[96:97]
	v_fma_f64 v[138:139], v[84:85], s[2:3], -v[152:153]
	v_add_f64_e32 v[68:69], v[214:215], v[68:69]
	v_fma_f64 v[74:75], v[80:81], s[18:19], v[146:147]
	v_fma_f64 v[146:147], v[80:81], s[18:19], -v[146:147]
	v_add_f64_e32 v[128:129], v[170:171], v[128:129]
	v_add_f64_e32 v[148:149], v[166:167], v[148:149]
	v_mul_f64_e32 v[166:167], s[36:37], v[112:113]
	v_fma_f64 v[200:201], v[90:91], s[26:27], -v[180:181]
	v_mul_f64_e32 v[112:113], s[12:13], v[112:113]
	v_add_f64_e32 v[154:155], v[186:187], v[154:155]
	v_mul_f64_e32 v[170:171], s[24:25], v[106:107]
	v_add_f64_e32 v[132:133], v[188:189], v[132:133]
	v_fma_f64 v[188:189], v[90:91], s[20:21], -v[120:121]
	v_add_f64_e32 v[134:135], v[176:177], v[134:135]
	v_fma_f64 v[176:177], v[98:99], s[20:21], v[194:195]
	v_add_f64_e32 v[196:197], v[198:199], v[196:197]
	v_fma_f64 v[198:199], v[98:99], s[6:7], v[114:115]
	v_add_f64_e32 v[28:29], v[202:203], v[28:29]
	v_add_f64_e32 v[160:161], v[162:163], v[160:161]
	v_fma_f64 v[162:163], v[90:91], s[26:27], v[180:181]
	v_add_f64_e32 v[122:123], v[122:123], v[172:173]
	v_fma_f64 v[114:115], v[98:99], s[6:7], -v[114:115]
	v_add_f64_e32 v[70:71], v[192:193], v[70:71]
	v_fma_f64 v[90:91], v[90:91], s[20:21], v[120:121]
	v_add_f64_e32 v[94:95], v[108:109], v[94:95]
	v_fma_f64 v[98:99], v[98:99], s[20:21], -v[194:195]
	v_add_f64_e32 v[108:109], v[110:111], v[118:119]
	v_fma_f64 v[180:181], v[86:87], s[20:21], -v[174:175]
	v_fma_f64 v[110:111], v[92:93], s[6:7], -v[116:117]
	;; [unrolled: 1-line block ×3, first 2 shown]
	v_mul_f64_e32 v[136:137], s[28:29], v[100:101]
	v_mul_f64_e32 v[172:173], s[24:25], v[100:101]
	;; [unrolled: 1-line block ×3, first 2 shown]
	v_fma_f64 v[164:165], v[92:93], s[14:15], v[190:191]
	v_fma_f64 v[116:117], v[92:93], s[6:7], v[116:117]
	v_add_f64_e32 v[182:183], v[184:185], v[182:183]
	v_fma_f64 v[184:185], v[92:93], s[20:21], v[32:33]
	v_fma_f64 v[32:33], v[92:93], s[20:21], -v[32:33]
	v_add_f64_e32 v[66:67], v[130:131], v[66:67]
	v_fma_f64 v[206:207], v[84:85], s[18:19], v[226:227]
	v_fma_f64 v[156:157], v[84:85], s[18:19], -v[226:227]
	v_add_f64_e32 v[118:119], v[124:125], v[148:149]
	v_fma_f64 v[148:149], v[86:87], s[14:15], -v[166:167]
	v_add_f64_e32 v[30:31], v[200:201], v[30:31]
	v_mul_f64_e32 v[124:125], s[28:29], v[106:107]
	v_mul_f64_e32 v[106:107], s[10:11], v[106:107]
	v_fma_f64 v[186:187], v[86:87], s[2:3], -v[112:113]
	v_add_f64_e32 v[36:37], v[36:37], v[154:155]
	v_add_f64_e32 v[132:133], v[188:189], v[132:133]
	v_fma_f64 v[188:189], v[92:93], s[2:3], v[104:105]
	v_add_f64_e32 v[24:25], v[176:177], v[196:197]
	v_add_f64_e32 v[26:27], v[198:199], v[134:135]
	;; [unrolled: 1-line block ×4, first 2 shown]
	v_fma_f64 v[72:73], v[86:87], s[14:15], v[166:167]
	v_add_f64_e32 v[128:129], v[162:163], v[128:129]
	v_fma_f64 v[134:135], v[92:93], s[14:15], -v[190:191]
	v_add_f64_e32 v[38:39], v[38:39], v[122:123]
	v_fma_f64 v[122:123], v[86:87], s[20:21], v[174:175]
	v_add_f64_e32 v[70:71], v[114:115], v[70:71]
	v_fma_f64 v[86:87], v[86:87], s[2:3], v[112:113]
	v_add_f64_e32 v[90:91], v[90:91], v[94:95]
	v_fma_f64 v[92:93], v[92:93], s[2:3], -v[104:105]
	v_add_f64_e32 v[94:95], v[98:99], v[108:109]
	v_fma_f64 v[98:99], v[88:89], s[2:3], -v[126:127]
	v_fma_f64 v[108:109], v[82:83], s[2:3], -v[140:141]
	v_add_f64_e32 v[62:63], v[120:121], v[62:63]
	v_mul_f64_e32 v[112:113], s[10:11], v[102:103]
	v_mul_f64_e32 v[114:115], s[10:11], v[96:97]
	;; [unrolled: 1-line block ×3, first 2 shown]
	v_add_f64_e32 v[154:155], v[180:181], v[182:183]
	v_mul_f64_e32 v[96:97], s[30:31], v[96:97]
	v_fma_f64 v[166:167], v[88:89], s[6:7], v[100:101]
	v_fma_f64 v[160:161], v[88:89], s[16:17], v[172:173]
	;; [unrolled: 1-line block ×3, first 2 shown]
	v_add_f64_e32 v[104:105], v[110:111], v[118:119]
	v_fma_f64 v[110:111], v[88:89], s[2:3], v[126:127]
	v_add_f64_e32 v[30:31], v[148:149], v[30:31]
	v_fma_f64 v[148:149], v[82:83], s[16:17], -v[170:171]
	v_mul_f64_e32 v[126:127], s[0:1], v[102:103]
	v_mul_f64_e32 v[102:103], s[30:31], v[102:103]
	v_fma_f64 v[162:163], v[82:83], s[6:7], -v[106:107]
	v_add_f64_e32 v[132:133], v[186:187], v[132:133]
	v_fma_f64 v[118:119], v[82:83], s[18:19], -v[124:125]
	v_add_f64_e32 v[20:21], v[188:189], v[24:25]
	v_add_f64_e32 v[22:23], v[184:185], v[26:27]
	;; [unrolled: 1-line block ×4, first 2 shown]
	v_fma_f64 v[28:29], v[82:83], s[18:19], v[124:125]
	v_add_f64_e32 v[34:35], v[72:73], v[128:129]
	v_fma_f64 v[72:73], v[88:89], s[18:19], -v[136:137]
	v_add_f64_e32 v[38:39], v[134:135], v[38:39]
	v_fma_f64 v[116:117], v[82:83], s[16:17], v[170:171]
	v_add_f64_e32 v[36:37], v[122:123], v[36:37]
	v_fma_f64 v[122:123], v[88:89], s[16:17], -v[172:173]
	v_add_f64_e32 v[32:33], v[32:33], v[70:71]
	;; [unrolled: 4-line block ×3, first 2 shown]
	v_add_f64_e32 v[92:93], v[142:143], v[46:47]
	v_add_f64_e32 v[142:143], v[18:19], v[14:15]
	v_fma_f64 v[94:95], v[80:81], s[26:27], v[150:151]
	v_fma_f64 v[46:47], v[80:81], s[26:27], -v[150:151]
	v_add_f64_e32 v[62:63], v[108:109], v[62:63]
	v_fma_f64 v[136:137], v[84:85], s[22:23], v[96:97]
	v_fma_f64 v[90:91], v[84:85], s[2:3], v[152:153]
	;; [unrolled: 1-line block ×3, first 2 shown]
	v_fma_f64 v[106:107], v[80:81], s[6:7], -v[112:113]
	v_fma_f64 v[100:101], v[84:85], s[26:27], -v[204:205]
	v_fma_f64 v[112:113], v[80:81], s[6:7], v[112:113]
	v_fma_f64 v[140:141], v[84:85], s[14:15], -v[140:141]
	v_add_f64_e32 v[98:99], v[98:99], v[104:105]
	v_fma_f64 v[104:105], v[84:85], s[26:27], v[204:205]
	v_add_f64_e32 v[18:19], v[146:147], v[144:145]
	v_add_f64_e32 v[128:129], v[148:149], v[154:155]
	;; [unrolled: 1-line block ×3, first 2 shown]
	v_fma_f64 v[134:135], v[80:81], s[22:23], -v[102:103]
	v_fma_f64 v[124:125], v[80:81], s[14:15], -v[126:127]
	v_add_f64_e32 v[132:133], v[162:163], v[132:133]
	v_add_f64_e32 v[108:109], v[118:119], v[30:31]
	v_fma_f64 v[118:119], v[84:85], s[6:7], v[114:115]
	v_add_f64_e32 v[150:151], v[166:167], v[20:21]
	v_add_f64_e32 v[152:153], v[160:161], v[22:23]
	;; [unrolled: 1-line block ×4, first 2 shown]
	v_fma_f64 v[114:115], v[84:85], s[6:7], -v[114:115]
	v_add_f64_e32 v[120:121], v[28:29], v[34:35]
	v_fma_f64 v[126:127], v[80:81], s[14:15], v[126:127]
	v_add_f64_e32 v[72:73], v[72:73], v[38:39]
	v_fma_f64 v[80:81], v[80:81], s[22:23], v[102:103]
	v_add_f64_e32 v[116:117], v[116:117], v[36:37]
	v_add_f64_e32 v[26:27], v[48:49], v[54:55]
	;; [unrolled: 1-line block ×5, first 2 shown]
	v_fma_f64 v[82:83], v[84:85], s[22:23], -v[96:97]
	v_add_f64_e32 v[84:85], v[86:87], v[88:89]
	v_add_f64_e32 v[20:21], v[42:43], v[52:53]
	v_add_f64_e32 v[10:11], v[142:143], v[10:11]
	v_add_f64_e32 v[30:31], v[56:57], v[68:69]
	v_add_f64_e32 v[16:17], v[206:207], v[158:159]
	v_add_f64_e32 v[34:35], v[46:47], v[62:63]
	v_add_f64_e32 v[14:15], v[74:75], v[178:179]
	v_add_f64_e32 v[28:29], v[90:91], v[92:93]
	v_add_f64_e32 v[12:13], v[156:157], v[168:169]
	v_add_f64_e32 v[52:53], v[212:213], v[60:61]
	v_add_f64_e32 v[50:51], v[138:139], v[64:65]
	v_add_f64_e32 v[56:57], v[94:95], v[66:67]
	v_add_f64_e32 v[54:55], v[100:101], v[98:99]
	v_add_f64_e32 v[8:9], v[148:149], v[8:9]
	v_add_f64_e32 v[42:43], v[124:125], v[128:129]
	v_add_f64_e32 v[48:49], v[134:135], v[132:133]
	v_add_f64_e32 v[38:39], v[106:107], v[108:109]
	v_add_f64_e32 v[46:47], v[136:137], v[150:151]
	v_add_f64_e32 v[40:41], v[130:131], v[152:153]
	v_add_f64_e32 v[36:37], v[118:119], v[24:25]
	v_add_f64_e32 v[32:33], v[104:105], v[110:111]
	v_add_f64_e32 v[24:25], v[44:45], v[58:59]
	v_add_f64_e32 v[60:61], v[112:113], v[120:121]
	v_mul_u32_u24_e32 v44, 0x110, v76
	v_add_f64_e32 v[58:59], v[114:115], v[72:73]
	v_add_f64_e32 v[64:65], v[126:127], v[116:117]
	v_add_f64_e32 v[62:63], v[140:141], v[122:123]
	s_delay_alu instid0(VALU_DEP_4)
	v_add3_u32 v44, 0, v44, v211
	v_add_f64_e32 v[68:69], v[80:81], v[70:71]
	v_add_f64_e32 v[66:67], v[82:83], v[84:85]
	ds_store_b128 v44, v[8:11]
	ds_store_b128 v44, v[46:49] offset:16
	ds_store_b128 v44, v[40:43] offset:32
	ds_store_b128 v44, v[36:39] offset:48
	ds_store_b128 v44, v[32:35] offset:64
	ds_store_b128 v44, v[28:31] offset:80
	ds_store_b128 v44, v[24:27] offset:96
	ds_store_b128 v44, v[20:23] offset:112
	ds_store_b128 v44, v[16:19] offset:128
	ds_store_b128 v44, v[12:15] offset:144
	ds_store_b128 v44, v[0:3] offset:160
	ds_store_b128 v44, v[4:7] offset:176
	ds_store_b128 v44, v[50:53] offset:192
	ds_store_b128 v44, v[54:57] offset:208
	ds_store_b128 v44, v[58:61] offset:224
	ds_store_b128 v44, v[62:65] offset:240
	ds_store_b128 v44, v[66:69] offset:256
.LBB0_12:
	s_or_b32 exec_lo, exec_lo, s33
	global_wb scope:SCOPE_SE
	s_wait_dscnt 0x0
	s_barrier_signal -1
	s_barrier_wait -1
	global_inv scope:SCOPE_SE
	ds_load_b128 v[12:15], v208
	ds_load_b128 v[16:19], v77 offset:544
	ds_load_b128 v[28:31], v77 offset:3536
	;; [unrolled: 1-line block ×9, first 2 shown]
	v_cmp_gt_u32_e64 s0, 17, v76
	s_delay_alu instid0(VALU_DEP_1)
	s_and_saveexec_b32 s1, s0
	s_cbranch_execz .LBB0_14
; %bb.13:
	ds_load_b128 v[0:3], v77 offset:2720
	ds_load_b128 v[4:7], v77 offset:5712
.LBB0_14:
	s_wait_alu 0xfffe
	s_or_b32 exec_lo, exec_lo, s1
	v_add_nc_u16 v48, v76, 34
	v_add_nc_u16 v49, v76, 0x44
	;; [unrolled: 1-line block ×4, first 2 shown]
	v_subrev_nc_u32_e32 v56, 17, v76
	v_dual_mov_b32 v69, 0 :: v_dual_and_b32 v52, 0xff, v48
	v_and_b32_e32 v53, 0xff, v49
	v_and_b32_e32 v54, 0xff, v50
	;; [unrolled: 1-line block ×3, first 2 shown]
	s_delay_alu instid0(VALU_DEP_4)
	v_mul_lo_u16 v52, 0xf1, v52
	v_cndmask_b32_e64 v68, v56, v76, s0
	v_mul_lo_u16 v53, 0xf1, v53
	v_mul_lo_u16 v54, 0xf1, v54
	;; [unrolled: 1-line block ×3, first 2 shown]
	v_lshrrev_b16 v75, 12, v52
	s_delay_alu instid0(VALU_DEP_4) | instskip(NEXT) | instid1(VALU_DEP_4)
	v_lshrrev_b16 v84, 12, v53
	v_lshrrev_b16 v85, 12, v54
	s_delay_alu instid0(VALU_DEP_4) | instskip(NEXT) | instid1(VALU_DEP_4)
	v_lshrrev_b16 v86, 12, v55
	v_mul_lo_u16 v52, v75, 17
	s_delay_alu instid0(VALU_DEP_4) | instskip(NEXT) | instid1(VALU_DEP_4)
	v_mul_lo_u16 v53, v84, 17
	v_mul_lo_u16 v54, v85, 17
	s_delay_alu instid0(VALU_DEP_4) | instskip(NEXT) | instid1(VALU_DEP_4)
	v_mul_lo_u16 v55, v86, 17
	v_sub_nc_u16 v52, v48, v52
	s_delay_alu instid0(VALU_DEP_4) | instskip(SKIP_2) | instid1(VALU_DEP_4)
	v_sub_nc_u16 v53, v49, v53
	v_lshlrev_b64_e32 v[48:49], 4, v[68:69]
	v_sub_nc_u16 v50, v50, v54
	v_and_b32_e32 v52, 0xff, v52
	v_sub_nc_u16 v51, v51, v55
	v_and_b32_e32 v53, 0xff, v53
	v_add_co_u32 v48, s1, s4, v48
	s_wait_alu 0xf1ff
	v_add_co_ci_u32_e64 v49, s1, s5, v49, s1
	v_and_b32_e32 v54, 0xff, v50
	v_lshlrev_b32_e32 v87, 4, v52
	v_and_b32_e32 v56, 0xff, v51
	global_load_b128 v[48:51], v[48:49], off
	v_lshlrev_b32_e32 v88, 4, v53
	v_lshlrev_b32_e32 v89, 4, v54
	global_load_b128 v[52:55], v87, s[4:5]
	v_lshlrev_b32_e32 v90, 4, v56
	s_clause 0x2
	global_load_b128 v[56:59], v88, s[4:5]
	global_load_b128 v[60:63], v89, s[4:5]
	;; [unrolled: 1-line block ×3, first 2 shown]
	v_cmp_lt_u32_e64 s1, 16, v76
	global_wb scope:SCOPE_SE
	s_wait_loadcnt_dscnt 0x0
	s_barrier_signal -1
	s_barrier_wait -1
	global_inv scope:SCOPE_SE
	v_mul_f64_e32 v[69:70], v[46:47], v[50:51]
	v_mul_f64_e32 v[50:51], v[44:45], v[50:51]
	;; [unrolled: 1-line block ×10, first 2 shown]
	v_fma_f64 v[44:45], v[44:45], v[48:49], v[69:70]
	v_fma_f64 v[46:47], v[46:47], v[48:49], -v[50:51]
	v_fma_f64 v[48:49], v[28:29], v[52:53], v[71:72]
	v_fma_f64 v[50:51], v[30:31], v[52:53], -v[54:55]
	;; [unrolled: 2-line block ×5, first 2 shown]
	v_add_f64_e64 v[28:29], v[12:13], -v[44:45]
	v_add_f64_e64 v[30:31], v[14:15], -v[46:47]
	;; [unrolled: 1-line block ×10, first 2 shown]
	s_wait_alu 0xf1ff
	v_cndmask_b32_e64 v48, 0, 0x220, s1
	v_lshlrev_b32_e32 v49, 4, v68
	v_and_b32_e32 v50, 0xffff, v75
	v_and_b32_e32 v51, 0xffff, v84
	;; [unrolled: 1-line block ×3, first 2 shown]
	v_add_nc_u32_e32 v48, 0, v48
	v_and_b32_e32 v53, 0xffff, v86
	s_delay_alu instid0(VALU_DEP_2) | instskip(SKIP_4) | instid1(VALU_DEP_4)
	v_add3_u32 v48, v48, v49, v211
	v_mad_u32_u24 v49, 0x220, v50, 0
	v_mad_u32_u24 v50, 0x220, v51, 0
	;; [unrolled: 1-line block ×4, first 2 shown]
	v_add3_u32 v49, v49, v87, v211
	s_delay_alu instid0(VALU_DEP_4) | instskip(NEXT) | instid1(VALU_DEP_4)
	v_add3_u32 v50, v50, v88, v211
	v_add3_u32 v51, v51, v89, v211
	s_delay_alu instid0(VALU_DEP_4)
	v_add3_u32 v52, v52, v90, v211
	v_fma_f64 v[12:13], v[12:13], 2.0, -v[28:29]
	v_fma_f64 v[14:15], v[14:15], 2.0, -v[30:31]
	v_fma_f64 v[16:17], v[16:17], 2.0, -v[32:33]
	v_fma_f64 v[18:19], v[18:19], 2.0, -v[34:35]
	v_fma_f64 v[24:25], v[24:25], 2.0, -v[36:37]
	v_fma_f64 v[26:27], v[26:27], 2.0, -v[38:39]
	v_fma_f64 v[20:21], v[20:21], 2.0, -v[40:41]
	v_fma_f64 v[22:23], v[22:23], 2.0, -v[42:43]
	v_fma_f64 v[8:9], v[8:9], 2.0, -v[44:45]
	v_fma_f64 v[10:11], v[10:11], 2.0, -v[46:47]
	ds_store_b128 v48, v[12:15]
	ds_store_b128 v48, v[28:31] offset:272
	ds_store_b128 v49, v[16:19]
	ds_store_b128 v49, v[32:35] offset:272
	;; [unrolled: 2-line block ×5, first 2 shown]
	s_and_saveexec_b32 s1, s0
	s_cbranch_execz .LBB0_16
; %bb.15:
	v_add_nc_u16 v8, v76, 0xaa
	s_delay_alu instid0(VALU_DEP_1) | instskip(NEXT) | instid1(VALU_DEP_1)
	v_and_b32_e32 v9, 0xff, v8
	v_mul_lo_u16 v9, 0xf1, v9
	s_delay_alu instid0(VALU_DEP_1) | instskip(NEXT) | instid1(VALU_DEP_1)
	v_lshrrev_b16 v9, 12, v9
	v_mul_lo_u16 v9, v9, 17
	s_delay_alu instid0(VALU_DEP_1) | instskip(NEXT) | instid1(VALU_DEP_1)
	v_sub_nc_u16 v8, v8, v9
	v_and_b32_e32 v8, 0xff, v8
	s_delay_alu instid0(VALU_DEP_1) | instskip(SKIP_4) | instid1(VALU_DEP_2)
	v_lshlrev_b32_e32 v14, 4, v8
	global_load_b128 v[8:11], v14, s[4:5]
	s_wait_loadcnt 0x0
	v_mul_f64_e32 v[12:13], v[4:5], v[10:11]
	v_mul_f64_e32 v[10:11], v[6:7], v[10:11]
	v_fma_f64 v[6:7], v[6:7], v[8:9], -v[12:13]
	s_delay_alu instid0(VALU_DEP_2) | instskip(SKIP_1) | instid1(VALU_DEP_3)
	v_fma_f64 v[4:5], v[4:5], v[8:9], v[10:11]
	v_add3_u32 v8, 0, v14, v211
	v_add_f64_e64 v[6:7], v[2:3], -v[6:7]
	s_delay_alu instid0(VALU_DEP_3) | instskip(NEXT) | instid1(VALU_DEP_2)
	v_add_f64_e64 v[4:5], v[0:1], -v[4:5]
	v_fma_f64 v[2:3], v[2:3], 2.0, -v[6:7]
	s_delay_alu instid0(VALU_DEP_2)
	v_fma_f64 v[0:1], v[0:1], 2.0, -v[4:5]
	ds_store_b128 v8, v[0:3] offset:5440
	ds_store_b128 v8, v[4:7] offset:5712
.LBB0_16:
	s_wait_alu 0xfffe
	s_or_b32 exec_lo, exec_lo, s1
	v_mul_u32_u24_e32 v0, 10, v76
	global_wb scope:SCOPE_SE
	s_wait_dscnt 0x0
	s_barrier_signal -1
	s_barrier_wait -1
	global_inv scope:SCOPE_SE
	v_lshlrev_b32_e32 v4, 4, v0
	s_mov_b32 s2, 0xf8bb580b
	s_mov_b32 s6, 0x8764f0ba
	;; [unrolled: 1-line block ×4, first 2 shown]
	s_clause 0x9
	global_load_b128 v[0:3], v4, s[4:5] offset:272
	global_load_b128 v[8:11], v4, s[4:5] offset:416
	global_load_b128 v[12:15], v4, s[4:5] offset:288
	global_load_b128 v[16:19], v4, s[4:5] offset:400
	global_load_b128 v[20:23], v4, s[4:5] offset:304
	global_load_b128 v[24:27], v4, s[4:5] offset:384
	global_load_b128 v[28:31], v4, s[4:5] offset:320
	global_load_b128 v[32:35], v4, s[4:5] offset:368
	global_load_b128 v[36:39], v4, s[4:5] offset:336
	global_load_b128 v[40:43], v4, s[4:5] offset:352
	ds_load_b128 v[4:7], v77 offset:544
	ds_load_b128 v[44:47], v77 offset:5440
	ds_load_b128 v[48:51], v77 offset:1088
	ds_load_b128 v[52:55], v77 offset:4896
	ds_load_b128 v[56:59], v77 offset:1632
	ds_load_b128 v[60:63], v77 offset:4352
	ds_load_b128 v[64:67], v77 offset:2176
	ds_load_b128 v[68:71], v77 offset:2720
	ds_load_b128 v[72:75], v77 offset:3808
	s_mov_b32 s3, 0xbfe14ced
	s_mov_b32 s7, 0x3feaeb8c
	s_mov_b32 s13, 0xbfed1bb4
	s_mov_b32 s15, 0x3fda9628
	s_mov_b32 s18, 0x43842ef
	s_mov_b32 s20, 0x640f44db
	s_mov_b32 s19, 0xbfefac9e
	s_mov_b32 s21, 0xbfc2375f
	s_mov_b32 s24, 0xbb3a28a1
	s_mov_b32 s26, 0x7f775887
	s_mov_b32 s25, 0xbfe82f19
	s_mov_b32 s27, 0xbfe4f49e
	s_mov_b32 s30, 0xfd768dbf
	s_mov_b32 s34, 0x9bcd5057
	s_mov_b32 s31, 0xbfd207e7
	s_mov_b32 s35, 0xbfeeb42a
	s_mov_b32 s11, 0x3fe14ced
	s_mov_b32 s17, 0x3fed1bb4
	s_wait_alu 0xfffe
	s_mov_b32 s10, s2
	s_mov_b32 s16, s12
	;; [unrolled: 1-line block ×8, first 2 shown]
	s_wait_loadcnt_dscnt 0x908
	v_mul_f64_e32 v[80:81], v[6:7], v[2:3]
	v_mul_f64_e32 v[2:3], v[4:5], v[2:3]
	s_wait_loadcnt_dscnt 0x807
	v_mul_f64_e32 v[84:85], v[44:45], v[10:11]
	s_wait_loadcnt_dscnt 0x706
	;; [unrolled: 2-line block ×3, first 2 shown]
	v_mul_f64_e32 v[88:89], v[52:53], v[18:19]
	v_mul_f64_e32 v[14:15], v[50:51], v[14:15]
	s_wait_loadcnt_dscnt 0x504
	v_mul_f64_e32 v[94:95], v[56:57], v[22:23]
	s_wait_loadcnt_dscnt 0x403
	v_mul_f64_e32 v[96:97], v[60:61], v[26:27]
	v_mul_f64_e32 v[10:11], v[46:47], v[10:11]
	;; [unrolled: 1-line block ×5, first 2 shown]
	s_wait_loadcnt_dscnt 0x200
	v_mul_f64_e32 v[100:101], v[74:75], v[34:35]
	v_mul_f64_e32 v[34:35], v[72:73], v[34:35]
	;; [unrolled: 1-line block ×4, first 2 shown]
	s_wait_loadcnt 0x1
	v_mul_f64_e32 v[102:103], v[70:71], v[38:39]
	v_mul_f64_e32 v[38:39], v[68:69], v[38:39]
	v_fma_f64 v[90:91], v[4:5], v[0:1], v[80:81]
	v_fma_f64 v[92:93], v[6:7], v[0:1], -v[2:3]
	ds_load_b128 v[80:83], v77 offset:3264
	ds_load_b128 v[0:3], v208
	v_fma_f64 v[4:5], v[46:47], v[8:9], -v[84:85]
	v_fma_f64 v[46:47], v[50:51], v[12:13], -v[86:87]
	;; [unrolled: 1-line block ×3, first 2 shown]
	v_fma_f64 v[48:49], v[48:49], v[12:13], v[14:15]
	v_fma_f64 v[58:59], v[58:59], v[20:21], -v[94:95]
	v_fma_f64 v[12:13], v[62:63], v[24:25], -v[96:97]
	v_fma_f64 v[8:9], v[44:45], v[8:9], v[10:11]
	v_fma_f64 v[20:21], v[56:57], v[20:21], v[22:23]
	;; [unrolled: 1-line block ×4, first 2 shown]
	v_fma_f64 v[24:25], v[74:75], v[32:33], -v[34:35]
	v_fma_f64 v[10:11], v[52:53], v[16:17], v[18:19]
	v_fma_f64 v[16:17], v[64:65], v[28:29], v[98:99]
	v_fma_f64 v[18:19], v[66:67], v[28:29], -v[30:31]
	v_fma_f64 v[26:27], v[68:69], v[36:37], v[102:103]
	v_fma_f64 v[28:29], v[70:71], v[36:37], -v[38:39]
	global_wb scope:SCOPE_SE
	s_wait_loadcnt_dscnt 0x0
	s_barrier_signal -1
	v_mul_f64_e32 v[104:105], v[82:83], v[42:43]
	v_mul_f64_e32 v[42:43], v[80:81], v[42:43]
	s_barrier_wait -1
	global_inv scope:SCOPE_SE
	v_add_f64_e32 v[50:51], v[0:1], v[90:91]
	v_add_f64_e32 v[54:55], v[2:3], v[92:93]
	v_add_f64_e64 v[34:35], v[92:93], -v[4:5]
	v_add_f64_e32 v[36:37], v[92:93], v[4:5]
	v_add_f64_e64 v[38:39], v[46:47], -v[6:7]
	v_add_f64_e32 v[52:53], v[90:91], v[8:9]
	v_add_f64_e32 v[60:61], v[20:21], v[14:15]
	v_add_f64_e64 v[62:63], v[20:21], -v[14:15]
	v_add_f64_e32 v[56:57], v[48:49], v[10:11]
	v_add_f64_e32 v[64:65], v[16:17], v[22:23]
	;; [unrolled: 1-line block ×3, first 2 shown]
	v_add_f64_e64 v[68:69], v[18:19], -v[24:25]
	v_add_f64_e64 v[70:71], v[16:17], -v[22:23]
	v_fma_f64 v[30:31], v[80:81], v[40:41], v[104:105]
	v_fma_f64 v[32:33], v[82:83], v[40:41], -v[42:43]
	v_add_f64_e32 v[40:41], v[46:47], v[6:7]
	v_add_f64_e32 v[42:43], v[50:51], v[48:49]
	;; [unrolled: 1-line block ×3, first 2 shown]
	v_add_f64_e64 v[54:55], v[90:91], -v[8:9]
	v_add_f64_e64 v[46:47], v[58:59], -v[12:13]
	v_mul_f64_e32 v[84:85], s[2:3], v[34:35]
	v_mul_f64_e32 v[86:87], s[6:7], v[36:37]
	;; [unrolled: 1-line block ×10, first 2 shown]
	v_add_f64_e32 v[50:51], v[58:59], v[12:13]
	v_add_f64_e64 v[48:49], v[48:49], -v[10:11]
	v_mul_f64_e32 v[100:101], s[12:13], v[38:39]
	v_mul_f64_e32 v[104:105], s[24:25], v[38:39]
	s_wait_alu 0xfffe
	v_mul_f64_e32 v[108:109], s[22:23], v[38:39]
	v_mul_f64_e32 v[128:129], s[24:25], v[68:69]
	;; [unrolled: 1-line block ×4, first 2 shown]
	v_add_f64_e32 v[72:73], v[26:27], v[30:31]
	v_add_f64_e32 v[74:75], v[28:29], v[32:33]
	v_mul_f64_e32 v[102:103], s[14:15], v[40:41]
	v_mul_f64_e32 v[106:107], s[34:35], v[40:41]
	;; [unrolled: 1-line block ×3, first 2 shown]
	v_add_f64_e64 v[80:81], v[26:27], -v[30:31]
	v_add_f64_e64 v[82:83], v[28:29], -v[32:33]
	v_mul_f64_e32 v[136:137], s[2:3], v[68:69]
	v_mul_f64_e32 v[138:139], s[6:7], v[66:67]
	;; [unrolled: 1-line block ×7, first 2 shown]
	v_add_f64_e32 v[20:21], v[42:43], v[20:21]
	v_add_f64_e32 v[42:43], v[44:45], v[58:59]
	v_mul_f64_e32 v[44:45], s[26:27], v[40:41]
	v_mul_f64_e32 v[58:59], s[36:37], v[38:39]
	;; [unrolled: 1-line block ×4, first 2 shown]
	v_fma_f64 v[160:161], v[52:53], s[14:15], v[88:89]
	v_fma_f64 v[162:163], v[54:55], s[16:17], v[90:91]
	v_fma_f64 v[88:89], v[52:53], s[14:15], -v[88:89]
	v_fma_f64 v[164:165], v[52:53], s[20:21], v[92:93]
	v_fma_f64 v[166:167], v[54:55], s[22:23], v[94:95]
	v_fma_f64 v[92:93], v[52:53], s[20:21], -v[92:93]
	;; [unrolled: 3-line block ×4, first 2 shown]
	v_fma_f64 v[36:37], v[54:55], s[30:31], v[36:37]
	v_fma_f64 v[98:99], v[54:55], s[24:25], v[98:99]
	;; [unrolled: 1-line block ×4, first 2 shown]
	v_mul_f64_e32 v[112:113], s[18:19], v[46:47]
	v_mul_f64_e32 v[146:147], s[34:35], v[74:75]
	;; [unrolled: 1-line block ×8, first 2 shown]
	v_fma_f64 v[176:177], v[56:57], s[26:27], v[104:105]
	v_mul_f64_e32 v[120:121], s[16:17], v[46:47]
	v_mul_f64_e32 v[122:123], s[14:15], v[50:51]
	v_fma_f64 v[104:105], v[56:57], s[26:27], -v[104:105]
	v_fma_f64 v[182:183], v[48:49], s[30:31], v[106:107]
	v_mul_f64_e32 v[124:125], s[2:3], v[46:47]
	v_mul_f64_e32 v[126:127], s[6:7], v[50:51]
	v_fma_f64 v[184:185], v[56:57], s[20:21], v[108:109]
	v_add_f64_e32 v[16:17], v[20:21], v[16:17]
	v_add_f64_e32 v[18:19], v[42:43], v[18:19]
	v_mul_f64_e32 v[20:21], s[20:21], v[74:75]
	v_fma_f64 v[42:43], v[52:53], s[6:7], v[84:85]
	v_fma_f64 v[74:75], v[54:55], s[10:11], v[86:87]
	v_fma_f64 v[84:85], v[52:53], s[6:7], -v[84:85]
	v_fma_f64 v[86:87], v[54:55], s[2:3], v[86:87]
	v_fma_f64 v[52:53], v[56:57], s[14:15], v[100:101]
	;; [unrolled: 1-line block ×3, first 2 shown]
	v_fma_f64 v[100:101], v[56:57], s[14:15], -v[100:101]
	v_fma_f64 v[102:103], v[48:49], s[12:13], v[102:103]
	v_fma_f64 v[178:179], v[48:49], s[28:29], v[44:45]
	v_add_f64_e32 v[160:161], v[0:1], v[160:161]
	v_add_f64_e32 v[162:163], v[2:3], v[162:163]
	v_fma_f64 v[180:181], v[56:57], s[34:35], v[58:59]
	v_add_f64_e32 v[88:89], v[0:1], v[88:89]
	v_add_f64_e32 v[164:165], v[0:1], v[164:165]
	;; [unrolled: 1-line block ×3, first 2 shown]
	v_fma_f64 v[58:59], v[56:57], s[34:35], -v[58:59]
	v_fma_f64 v[186:187], v[48:49], s[18:19], v[110:111]
	v_add_f64_e32 v[92:93], v[0:1], v[92:93]
	v_add_f64_e32 v[168:169], v[0:1], v[168:169]
	v_add_f64_e32 v[170:171], v[2:3], v[170:171]
	v_mul_f64_e32 v[46:47], s[24:25], v[46:47]
	v_mul_f64_e32 v[50:51], s[26:27], v[50:51]
	v_fma_f64 v[108:109], v[56:57], s[20:21], -v[108:109]
	v_add_f64_e32 v[96:97], v[0:1], v[96:97]
	v_add_f64_e32 v[172:173], v[0:1], v[172:173]
	;; [unrolled: 1-line block ×3, first 2 shown]
	v_fma_f64 v[106:107], v[48:49], s[36:37], v[106:107]
	v_add_f64_e32 v[94:95], v[2:3], v[94:95]
	v_fma_f64 v[44:45], v[48:49], s[24:25], v[44:45]
	v_add_f64_e32 v[90:91], v[2:3], v[90:91]
	v_fma_f64 v[188:189], v[60:61], s[34:35], v[116:117]
	v_fma_f64 v[190:191], v[62:63], s[30:31], v[118:119]
	;; [unrolled: 1-line block ×4, first 2 shown]
	v_fma_f64 v[120:121], v[60:61], s[14:15], -v[120:121]
	v_add_f64_e32 v[16:17], v[16:17], v[26:27]
	v_add_f64_e32 v[18:19], v[18:19], v[28:29]
	v_fma_f64 v[26:27], v[48:49], s[22:23], v[110:111]
	v_add_f64_e32 v[42:43], v[0:1], v[42:43]
	v_fma_f64 v[28:29], v[56:57], s[6:7], v[38:39]
	v_add_f64_e32 v[84:85], v[0:1], v[84:85]
	v_add_f64_e32 v[86:87], v[2:3], v[86:87]
	v_fma_f64 v[110:111], v[48:49], s[2:3], v[40:41]
	v_fma_f64 v[38:39], v[56:57], s[6:7], -v[38:39]
	v_fma_f64 v[40:41], v[48:49], s[10:11], v[40:41]
	v_add_f64_e32 v[0:1], v[0:1], v[34:35]
	v_add_f64_e32 v[34:35], v[2:3], v[36:37]
	;; [unrolled: 1-line block ×4, first 2 shown]
	v_fma_f64 v[48:49], v[60:61], s[20:21], v[112:113]
	v_fma_f64 v[56:57], v[62:63], s[22:23], v[114:115]
	v_fma_f64 v[112:113], v[60:61], s[20:21], -v[112:113]
	v_fma_f64 v[114:115], v[62:63], s[18:19], v[114:115]
	v_add_f64_e32 v[88:89], v[104:105], v[88:89]
	v_add_f64_e32 v[104:105], v[182:183], v[166:167]
	;; [unrolled: 1-line block ×4, first 2 shown]
	v_fma_f64 v[74:75], v[60:61], s[6:7], -v[124:125]
	v_fma_f64 v[98:99], v[62:63], s[2:3], v[126:127]
	v_fma_f64 v[122:123], v[62:63], s[16:17], v[122:123]
	v_fma_f64 v[116:117], v[60:61], s[34:35], -v[116:117]
	v_add_f64_e32 v[96:97], v[108:109], v[96:97]
	v_fma_f64 v[118:119], v[62:63], s[36:37], v[118:119]
	v_mul_f64_e32 v[148:149], s[10:11], v[82:83]
	v_fma_f64 v[196:197], v[64:65], s[20:21], v[132:133]
	v_fma_f64 v[198:199], v[70:71], s[18:19], v[134:135]
	v_mul_f64_e32 v[152:153], s[24:25], v[82:83]
	v_mul_f64_e32 v[156:157], s[16:17], v[82:83]
	;; [unrolled: 1-line block ×4, first 2 shown]
	v_fma_f64 v[132:133], v[64:65], s[20:21], -v[132:133]
	v_fma_f64 v[134:135], v[70:71], s[22:23], v[134:135]
	v_add_f64_e32 v[16:17], v[16:17], v[30:31]
	v_add_f64_e32 v[18:19], v[18:19], v[32:33]
	v_fma_f64 v[30:31], v[60:61], s[6:7], v[124:125]
	v_add_f64_e32 v[42:43], v[52:53], v[42:43]
	v_fma_f64 v[32:33], v[62:63], s[10:11], v[126:127]
	v_add_f64_e32 v[52:53], v[100:101], v[84:85]
	v_add_f64_e32 v[84:85], v[102:103], v[86:87]
	;; [unrolled: 1-line block ×6, first 2 shown]
	v_fma_f64 v[124:125], v[60:61], s[26:27], v[46:47]
	v_fma_f64 v[126:127], v[62:63], s[28:29], v[50:51]
	v_add_f64_e32 v[28:29], v[28:29], v[172:173]
	v_add_f64_e32 v[108:109], v[110:111], v[174:175]
	v_fma_f64 v[46:47], v[60:61], s[26:27], -v[46:47]
	v_fma_f64 v[50:51], v[62:63], s[24:25], v[50:51]
	v_add_f64_e32 v[0:1], v[38:39], v[0:1]
	v_add_f64_e32 v[34:35], v[40:41], v[34:35]
	;; [unrolled: 1-line block ×6, first 2 shown]
	v_fma_f64 v[60:61], v[64:65], s[26:27], v[128:129]
	v_fma_f64 v[54:55], v[64:65], s[34:35], v[140:141]
	;; [unrolled: 1-line block ×3, first 2 shown]
	v_fma_f64 v[40:41], v[64:65], s[6:7], -v[136:137]
	v_fma_f64 v[110:111], v[64:65], s[14:15], v[68:69]
	v_add_f64_e32 v[58:59], v[120:121], v[58:59]
	v_fma_f64 v[128:129], v[64:65], s[26:27], -v[128:129]
	v_fma_f64 v[94:95], v[64:65], s[34:35], -v[140:141]
	v_fma_f64 v[106:107], v[70:71], s[30:31], v[142:143]
	v_add_f64_e32 v[74:75], v[74:75], v[96:97]
	v_fma_f64 v[44:45], v[70:71], s[2:3], v[138:139]
	v_add_f64_e32 v[88:89], v[116:117], v[88:89]
	v_fma_f64 v[62:63], v[70:71], s[28:29], v[130:131]
	v_fma_f64 v[130:131], v[70:71], s[24:25], v[130:131]
	;; [unrolled: 1-line block ×3, first 2 shown]
	v_add_f64_e32 v[16:17], v[16:17], v[22:23]
	v_add_f64_e32 v[18:19], v[18:19], v[24:25]
	v_fma_f64 v[22:23], v[64:65], s[6:7], v[136:137]
	v_add_f64_e32 v[42:43], v[48:49], v[42:43]
	v_fma_f64 v[24:25], v[70:71], s[10:11], v[138:139]
	v_add_f64_e32 v[48:49], v[112:113], v[52:53]
	v_add_f64_e32 v[52:53], v[114:115], v[84:85]
	;; [unrolled: 1-line block ×8, first 2 shown]
	v_fma_f64 v[136:137], v[70:71], s[12:13], v[66:67]
	v_add_f64_e32 v[28:29], v[124:125], v[28:29]
	v_add_f64_e32 v[92:93], v[126:127], v[108:109]
	v_fma_f64 v[64:65], v[64:65], s[14:15], -v[68:69]
	v_fma_f64 v[66:67], v[70:71], s[16:17], v[66:67]
	v_add_f64_e32 v[0:1], v[46:47], v[0:1]
	v_add_f64_e32 v[34:35], v[50:51], v[34:35]
	;; [unrolled: 1-line block ×6, first 2 shown]
	v_fma_f64 v[70:71], v[80:81], s[36:37], v[146:147]
	v_fma_f64 v[50:51], v[80:81], s[10:11], v[150:151]
	;; [unrolled: 1-line block ×10, first 2 shown]
	v_fma_f64 v[98:99], v[72:73], s[26:27], -v[152:153]
	v_fma_f64 v[118:119], v[72:73], s[20:21], v[82:83]
	v_add_f64_e32 v[40:41], v[40:41], v[58:59]
	v_fma_f64 v[68:69], v[72:73], s[34:35], v[144:145]
	v_add_f64_e32 v[14:15], v[16:17], v[14:15]
	v_add_f64_e32 v[12:13], v[18:19], v[12:13]
	v_fma_f64 v[16:17], v[72:73], s[6:7], v[148:149]
	v_fma_f64 v[18:19], v[80:81], s[2:3], v[150:151]
	v_add_f64_e32 v[42:43], v[60:61], v[42:43]
	v_fma_f64 v[138:139], v[72:73], s[34:35], -v[144:145]
	v_fma_f64 v[46:47], v[72:73], s[6:7], -v[148:149]
	v_add_f64_e32 v[60:61], v[196:197], v[84:85]
	v_add_f64_e32 v[80:81], v[198:199], v[86:87]
	;; [unrolled: 1-line block ×6, first 2 shown]
	v_fma_f64 v[114:115], v[72:73], s[14:15], -v[156:157]
	v_add_f64_e32 v[28:29], v[110:111], v[28:29]
	v_add_f64_e32 v[58:59], v[136:137], v[92:93]
	v_fma_f64 v[72:73], v[72:73], s[20:21], -v[82:83]
	v_add_f64_e32 v[54:55], v[94:95], v[74:75]
	v_add_f64_e32 v[64:65], v[64:65], v[0:1]
	;; [unrolled: 1-line block ×10, first 2 shown]
	s_mov_b32 s2, exec_lo
	v_add_f64_e32 v[26:27], v[98:99], v[40:41]
	v_add_f64_e32 v[88:89], v[14:15], v[10:11]
	;; [unrolled: 1-line block ×24, first 2 shown]
	ds_store_b128 v77, v[14:17] offset:1088
	ds_store_b128 v77, v[22:25] offset:1632
	;; [unrolled: 1-line block ×9, first 2 shown]
	ds_store_b128 v77, v[6:9]
	ds_store_b128 v77, v[0:3] offset:544
	global_wb scope:SCOPE_SE
	s_wait_dscnt 0x0
	s_barrier_signal -1
	s_barrier_wait -1
	global_inv scope:SCOPE_SE
	ds_load_b128 v[4:7], v208
	v_sub_nc_u32_e32 v12, v210, v209
                                        ; implicit-def: $vgpr2_vgpr3
                                        ; implicit-def: $vgpr8_vgpr9
                                        ; implicit-def: $vgpr10_vgpr11
	v_cmpx_ne_u32_e32 0, v76
	s_wait_alu 0xfffe
	s_xor_b32 s2, exec_lo, s2
	s_cbranch_execz .LBB0_18
; %bb.17:
	v_mov_b32_e32 v77, 0
                                        ; implicit-def: $vgpr210
	s_delay_alu instid0(VALU_DEP_1) | instskip(NEXT) | instid1(VALU_DEP_1)
	v_lshlrev_b64_e32 v[0:1], 4, v[76:77]
	v_add_co_u32 v0, s1, s4, v0
	s_wait_alu 0xf1ff
	s_delay_alu instid0(VALU_DEP_2)
	v_add_co_ci_u32_e64 v1, s1, s5, v1, s1
	global_load_b128 v[13:16], v[0:1], off offset:5712
	ds_load_b128 v[0:3], v12 offset:5984
	s_wait_dscnt 0x0
	v_add_f64_e64 v[8:9], v[4:5], -v[0:1]
	v_add_f64_e32 v[10:11], v[6:7], v[2:3]
	v_add_f64_e64 v[2:3], v[6:7], -v[2:3]
	v_add_f64_e32 v[0:1], v[4:5], v[0:1]
	s_delay_alu instid0(VALU_DEP_4) | instskip(NEXT) | instid1(VALU_DEP_4)
	v_mul_f64_e32 v[6:7], 0.5, v[8:9]
	v_mul_f64_e32 v[4:5], 0.5, v[10:11]
	s_delay_alu instid0(VALU_DEP_4) | instskip(SKIP_1) | instid1(VALU_DEP_3)
	v_mul_f64_e32 v[2:3], 0.5, v[2:3]
	s_wait_loadcnt 0x0
	v_mul_f64_e32 v[8:9], v[6:7], v[15:16]
	s_delay_alu instid0(VALU_DEP_2) | instskip(SKIP_1) | instid1(VALU_DEP_3)
	v_fma_f64 v[10:11], v[4:5], v[15:16], v[2:3]
	v_fma_f64 v[2:3], v[4:5], v[15:16], -v[2:3]
	v_fma_f64 v[17:18], v[0:1], 0.5, v[8:9]
	v_fma_f64 v[0:1], v[0:1], 0.5, -v[8:9]
	s_delay_alu instid0(VALU_DEP_4) | instskip(NEXT) | instid1(VALU_DEP_4)
	v_fma_f64 v[8:9], -v[13:14], v[6:7], v[10:11]
	v_fma_f64 v[2:3], -v[13:14], v[6:7], v[2:3]
	v_dual_mov_b32 v10, v76 :: v_dual_mov_b32 v11, v77
	v_fma_f64 v[15:16], v[4:5], v[13:14], v[17:18]
	v_fma_f64 v[0:1], -v[4:5], v[13:14], v[0:1]
                                        ; implicit-def: $vgpr4_vgpr5
	ds_store_b64 v208, v[15:16]
.LBB0_18:
	s_wait_alu 0xfffe
	s_and_not1_saveexec_b32 s1, s2
	s_cbranch_execz .LBB0_20
; %bb.19:
	s_wait_dscnt 0x0
	v_add_f64_e32 v[13:14], v[4:5], v[6:7]
	v_add_f64_e64 v[0:1], v[4:5], -v[6:7]
	ds_load_b64 v[4:5], v210 offset:3000
	v_mov_b32_e32 v8, 0
	v_dual_mov_b32 v9, 0 :: v_dual_mov_b32 v10, 0
	s_delay_alu instid0(VALU_DEP_2) | instskip(NEXT) | instid1(VALU_DEP_2)
	v_dual_mov_b32 v11, 0 :: v_dual_mov_b32 v2, v8
	v_mov_b32_e32 v3, v9
	s_wait_dscnt 0x0
	v_xor_b32_e32 v5, 0x80000000, v5
	ds_store_b64 v208, v[13:14]
	ds_store_b64 v210, v[4:5] offset:3000
.LBB0_20:
	s_wait_alu 0xfffe
	s_or_b32 exec_lo, exec_lo, s1
	s_wait_dscnt 0x0
	v_lshlrev_b64_e32 v[4:5], 4, v[10:11]
	s_add_nc_u64 s[2:3], s[4:5], 0x1650
	s_wait_alu 0xfffe
	s_delay_alu instid0(VALU_DEP_1) | instskip(SKIP_1) | instid1(VALU_DEP_2)
	v_add_co_u32 v6, s1, s2, v4
	s_wait_alu 0xf1ff
	v_add_co_ci_u32_e64 v7, s1, s3, v5, s1
	s_clause 0x1
	global_load_b128 v[13:16], v[6:7], off offset:544
	global_load_b128 v[17:20], v[6:7], off offset:1088
	ds_store_b64 v208, v[8:9] offset:8
	ds_store_b128 v12, v[0:3] offset:5984
	ds_load_b128 v[0:3], v208 offset:544
	ds_load_b128 v[8:11], v12 offset:5440
	s_wait_dscnt 0x0
	v_add_f64_e64 v[21:22], v[0:1], -v[8:9]
	v_add_f64_e32 v[23:24], v[2:3], v[10:11]
	v_add_f64_e64 v[2:3], v[2:3], -v[10:11]
	v_add_f64_e32 v[0:1], v[0:1], v[8:9]
	s_delay_alu instid0(VALU_DEP_4) | instskip(NEXT) | instid1(VALU_DEP_4)
	v_mul_f64_e32 v[10:11], 0.5, v[21:22]
	v_mul_f64_e32 v[21:22], 0.5, v[23:24]
	s_delay_alu instid0(VALU_DEP_4) | instskip(SKIP_1) | instid1(VALU_DEP_3)
	v_mul_f64_e32 v[2:3], 0.5, v[2:3]
	s_wait_loadcnt 0x1
	v_mul_f64_e32 v[8:9], v[10:11], v[15:16]
	s_delay_alu instid0(VALU_DEP_2) | instskip(SKIP_1) | instid1(VALU_DEP_3)
	v_fma_f64 v[23:24], v[21:22], v[15:16], v[2:3]
	v_fma_f64 v[15:16], v[21:22], v[15:16], -v[2:3]
	v_fma_f64 v[25:26], v[0:1], 0.5, v[8:9]
	v_fma_f64 v[8:9], v[0:1], 0.5, -v[8:9]
	s_delay_alu instid0(VALU_DEP_4) | instskip(NEXT) | instid1(VALU_DEP_4)
	v_fma_f64 v[2:3], -v[13:14], v[10:11], v[23:24]
	v_fma_f64 v[10:11], -v[13:14], v[10:11], v[15:16]
	s_delay_alu instid0(VALU_DEP_4) | instskip(NEXT) | instid1(VALU_DEP_4)
	v_fma_f64 v[0:1], v[21:22], v[13:14], v[25:26]
	v_fma_f64 v[8:9], -v[21:22], v[13:14], v[8:9]
	global_load_b128 v[13:16], v[6:7], off offset:1632
	ds_store_b128 v208, v[0:3] offset:544
	ds_store_b128 v12, v[8:11] offset:5440
	ds_load_b128 v[0:3], v208 offset:1088
	ds_load_b128 v[8:11], v12 offset:4896
	s_wait_dscnt 0x0
	v_add_f64_e64 v[21:22], v[0:1], -v[8:9]
	v_add_f64_e32 v[23:24], v[2:3], v[10:11]
	v_add_f64_e64 v[2:3], v[2:3], -v[10:11]
	v_add_f64_e32 v[0:1], v[0:1], v[8:9]
	s_delay_alu instid0(VALU_DEP_4) | instskip(NEXT) | instid1(VALU_DEP_4)
	v_mul_f64_e32 v[10:11], 0.5, v[21:22]
	v_mul_f64_e32 v[21:22], 0.5, v[23:24]
	s_delay_alu instid0(VALU_DEP_4) | instskip(SKIP_1) | instid1(VALU_DEP_3)
	v_mul_f64_e32 v[2:3], 0.5, v[2:3]
	s_wait_loadcnt 0x1
	v_mul_f64_e32 v[8:9], v[10:11], v[19:20]
	s_delay_alu instid0(VALU_DEP_2) | instskip(SKIP_1) | instid1(VALU_DEP_3)
	v_fma_f64 v[23:24], v[21:22], v[19:20], v[2:3]
	v_fma_f64 v[19:20], v[21:22], v[19:20], -v[2:3]
	v_fma_f64 v[25:26], v[0:1], 0.5, v[8:9]
	v_fma_f64 v[8:9], v[0:1], 0.5, -v[8:9]
	s_delay_alu instid0(VALU_DEP_4) | instskip(NEXT) | instid1(VALU_DEP_4)
	v_fma_f64 v[2:3], -v[17:18], v[10:11], v[23:24]
	v_fma_f64 v[10:11], -v[17:18], v[10:11], v[19:20]
	s_delay_alu instid0(VALU_DEP_4) | instskip(NEXT) | instid1(VALU_DEP_4)
	v_fma_f64 v[0:1], v[21:22], v[17:18], v[25:26]
	v_fma_f64 v[8:9], -v[21:22], v[17:18], v[8:9]
	global_load_b128 v[17:20], v[6:7], off offset:2176
	ds_store_b128 v208, v[0:3] offset:1088
	ds_store_b128 v12, v[8:11] offset:4896
	ds_load_b128 v[0:3], v208 offset:1632
	ds_load_b128 v[8:11], v12 offset:4352
	s_wait_dscnt 0x0
	v_add_f64_e64 v[21:22], v[0:1], -v[8:9]
	v_add_f64_e32 v[23:24], v[2:3], v[10:11]
	v_add_f64_e64 v[2:3], v[2:3], -v[10:11]
	v_add_f64_e32 v[0:1], v[0:1], v[8:9]
	s_delay_alu instid0(VALU_DEP_4) | instskip(NEXT) | instid1(VALU_DEP_4)
	v_mul_f64_e32 v[10:11], 0.5, v[21:22]
	v_mul_f64_e32 v[21:22], 0.5, v[23:24]
	s_delay_alu instid0(VALU_DEP_4) | instskip(SKIP_1) | instid1(VALU_DEP_3)
	v_mul_f64_e32 v[2:3], 0.5, v[2:3]
	s_wait_loadcnt 0x1
	v_mul_f64_e32 v[8:9], v[10:11], v[15:16]
	s_delay_alu instid0(VALU_DEP_2) | instskip(SKIP_1) | instid1(VALU_DEP_3)
	v_fma_f64 v[23:24], v[21:22], v[15:16], v[2:3]
	v_fma_f64 v[15:16], v[21:22], v[15:16], -v[2:3]
	v_fma_f64 v[25:26], v[0:1], 0.5, v[8:9]
	v_fma_f64 v[8:9], v[0:1], 0.5, -v[8:9]
	s_delay_alu instid0(VALU_DEP_4) | instskip(NEXT) | instid1(VALU_DEP_4)
	v_fma_f64 v[2:3], -v[13:14], v[10:11], v[23:24]
	v_fma_f64 v[10:11], -v[13:14], v[10:11], v[15:16]
	s_delay_alu instid0(VALU_DEP_4) | instskip(NEXT) | instid1(VALU_DEP_4)
	v_fma_f64 v[0:1], v[21:22], v[13:14], v[25:26]
	v_fma_f64 v[8:9], -v[21:22], v[13:14], v[8:9]
	ds_store_b128 v208, v[0:3] offset:1632
	ds_store_b128 v12, v[8:11] offset:4352
	ds_load_b128 v[0:3], v208 offset:2176
	ds_load_b128 v[8:11], v12 offset:3808
	s_wait_dscnt 0x0
	v_add_f64_e64 v[13:14], v[0:1], -v[8:9]
	v_add_f64_e32 v[15:16], v[2:3], v[10:11]
	v_add_f64_e64 v[2:3], v[2:3], -v[10:11]
	v_add_f64_e32 v[0:1], v[0:1], v[8:9]
	s_delay_alu instid0(VALU_DEP_4) | instskip(NEXT) | instid1(VALU_DEP_4)
	v_mul_f64_e32 v[10:11], 0.5, v[13:14]
	v_mul_f64_e32 v[13:14], 0.5, v[15:16]
	s_delay_alu instid0(VALU_DEP_4) | instskip(SKIP_1) | instid1(VALU_DEP_3)
	v_mul_f64_e32 v[2:3], 0.5, v[2:3]
	s_wait_loadcnt 0x0
	v_mul_f64_e32 v[8:9], v[10:11], v[19:20]
	s_delay_alu instid0(VALU_DEP_2) | instskip(SKIP_1) | instid1(VALU_DEP_3)
	v_fma_f64 v[15:16], v[13:14], v[19:20], v[2:3]
	v_fma_f64 v[19:20], v[13:14], v[19:20], -v[2:3]
	v_fma_f64 v[21:22], v[0:1], 0.5, v[8:9]
	v_fma_f64 v[8:9], v[0:1], 0.5, -v[8:9]
	s_delay_alu instid0(VALU_DEP_4) | instskip(NEXT) | instid1(VALU_DEP_4)
	v_fma_f64 v[2:3], -v[17:18], v[10:11], v[15:16]
	v_fma_f64 v[10:11], -v[17:18], v[10:11], v[19:20]
	s_delay_alu instid0(VALU_DEP_4) | instskip(NEXT) | instid1(VALU_DEP_4)
	v_fma_f64 v[0:1], v[13:14], v[17:18], v[21:22]
	v_fma_f64 v[8:9], -v[13:14], v[17:18], v[8:9]
	ds_store_b128 v208, v[0:3] offset:2176
	ds_store_b128 v12, v[8:11] offset:3808
	s_and_saveexec_b32 s1, s0
	s_cbranch_execz .LBB0_22
; %bb.21:
	global_load_b128 v[0:3], v[6:7], off offset:2720
	ds_load_b128 v[6:9], v208 offset:2720
	ds_load_b128 v[13:16], v12 offset:3264
	s_wait_dscnt 0x0
	v_add_f64_e64 v[10:11], v[6:7], -v[13:14]
	v_add_f64_e32 v[17:18], v[8:9], v[15:16]
	v_add_f64_e64 v[8:9], v[8:9], -v[15:16]
	v_add_f64_e32 v[6:7], v[6:7], v[13:14]
	s_delay_alu instid0(VALU_DEP_4) | instskip(NEXT) | instid1(VALU_DEP_4)
	v_mul_f64_e32 v[10:11], 0.5, v[10:11]
	v_mul_f64_e32 v[15:16], 0.5, v[17:18]
	s_delay_alu instid0(VALU_DEP_4) | instskip(SKIP_1) | instid1(VALU_DEP_3)
	v_mul_f64_e32 v[8:9], 0.5, v[8:9]
	s_wait_loadcnt 0x0
	v_mul_f64_e32 v[13:14], v[10:11], v[2:3]
	s_delay_alu instid0(VALU_DEP_2) | instskip(SKIP_1) | instid1(VALU_DEP_3)
	v_fma_f64 v[17:18], v[15:16], v[2:3], v[8:9]
	v_fma_f64 v[2:3], v[15:16], v[2:3], -v[8:9]
	v_fma_f64 v[19:20], v[6:7], 0.5, v[13:14]
	v_fma_f64 v[13:14], v[6:7], 0.5, -v[13:14]
	s_delay_alu instid0(VALU_DEP_4) | instskip(NEXT) | instid1(VALU_DEP_4)
	v_fma_f64 v[8:9], -v[0:1], v[10:11], v[17:18]
	v_fma_f64 v[2:3], -v[0:1], v[10:11], v[2:3]
	s_delay_alu instid0(VALU_DEP_4) | instskip(NEXT) | instid1(VALU_DEP_4)
	v_fma_f64 v[6:7], v[15:16], v[0:1], v[19:20]
	v_fma_f64 v[0:1], -v[15:16], v[0:1], v[13:14]
	ds_store_b128 v208, v[6:9] offset:2720
	ds_store_b128 v12, v[0:3] offset:3264
.LBB0_22:
	s_wait_alu 0xfffe
	s_or_b32 exec_lo, exec_lo, s1
	global_wb scope:SCOPE_SE
	s_wait_dscnt 0x0
	s_barrier_signal -1
	s_barrier_wait -1
	global_inv scope:SCOPE_SE
	s_and_saveexec_b32 s0, vcc_lo
	s_cbranch_execz .LBB0_25
; %bb.23:
	ds_load_b128 v[6:9], v208
	ds_load_b128 v[10:13], v208 offset:544
	ds_load_b128 v[14:17], v208 offset:1088
	;; [unrolled: 1-line block ×10, first 2 shown]
	v_add_co_u32 v0, vcc_lo, s8, v78
	s_wait_alu 0xfffd
	v_add_co_ci_u32_e32 v1, vcc_lo, s9, v79, vcc_lo
	s_delay_alu instid0(VALU_DEP_2) | instskip(SKIP_1) | instid1(VALU_DEP_2)
	v_add_co_u32 v2, vcc_lo, v0, v4
	s_wait_alu 0xfffd
	v_add_co_ci_u32_e32 v3, vcc_lo, v1, v5, vcc_lo
	v_cmp_eq_u32_e32 vcc_lo, 33, v76
	s_wait_dscnt 0xa
	global_store_b128 v[2:3], v[6:9], off
	s_wait_dscnt 0x9
	global_store_b128 v[2:3], v[10:13], off offset:544
	s_wait_dscnt 0x8
	global_store_b128 v[2:3], v[14:17], off offset:1088
	;; [unrolled: 2-line block ×10, first 2 shown]
	s_and_b32 exec_lo, exec_lo, vcc_lo
	s_cbranch_execz .LBB0_25
; %bb.24:
	ds_load_b128 v[2:5], v208 offset:5456
	s_wait_dscnt 0x0
	global_store_b128 v[0:1], v[2:5], off offset:5984
.LBB0_25:
	s_nop 0
	s_sendmsg sendmsg(MSG_DEALLOC_VGPRS)
	s_endpgm
	.section	.rodata,"a",@progbits
	.p2align	6, 0x0
	.amdhsa_kernel fft_rtc_back_len374_factors_17_2_11_wgs_238_tpt_34_halfLds_dp_ip_CI_unitstride_sbrr_R2C_dirReg
		.amdhsa_group_segment_fixed_size 0
		.amdhsa_private_segment_fixed_size 0
		.amdhsa_kernarg_size 88
		.amdhsa_user_sgpr_count 2
		.amdhsa_user_sgpr_dispatch_ptr 0
		.amdhsa_user_sgpr_queue_ptr 0
		.amdhsa_user_sgpr_kernarg_segment_ptr 1
		.amdhsa_user_sgpr_dispatch_id 0
		.amdhsa_user_sgpr_private_segment_size 0
		.amdhsa_wavefront_size32 1
		.amdhsa_uses_dynamic_stack 0
		.amdhsa_enable_private_segment 0
		.amdhsa_system_sgpr_workgroup_id_x 1
		.amdhsa_system_sgpr_workgroup_id_y 0
		.amdhsa_system_sgpr_workgroup_id_z 0
		.amdhsa_system_sgpr_workgroup_info 0
		.amdhsa_system_vgpr_workitem_id 0
		.amdhsa_next_free_vgpr 252
		.amdhsa_next_free_sgpr 52
		.amdhsa_reserve_vcc 1
		.amdhsa_float_round_mode_32 0
		.amdhsa_float_round_mode_16_64 0
		.amdhsa_float_denorm_mode_32 3
		.amdhsa_float_denorm_mode_16_64 3
		.amdhsa_fp16_overflow 0
		.amdhsa_workgroup_processor_mode 1
		.amdhsa_memory_ordered 1
		.amdhsa_forward_progress 0
		.amdhsa_round_robin_scheduling 0
		.amdhsa_exception_fp_ieee_invalid_op 0
		.amdhsa_exception_fp_denorm_src 0
		.amdhsa_exception_fp_ieee_div_zero 0
		.amdhsa_exception_fp_ieee_overflow 0
		.amdhsa_exception_fp_ieee_underflow 0
		.amdhsa_exception_fp_ieee_inexact 0
		.amdhsa_exception_int_div_zero 0
	.end_amdhsa_kernel
	.text
.Lfunc_end0:
	.size	fft_rtc_back_len374_factors_17_2_11_wgs_238_tpt_34_halfLds_dp_ip_CI_unitstride_sbrr_R2C_dirReg, .Lfunc_end0-fft_rtc_back_len374_factors_17_2_11_wgs_238_tpt_34_halfLds_dp_ip_CI_unitstride_sbrr_R2C_dirReg
                                        ; -- End function
	.section	.AMDGPU.csdata,"",@progbits
; Kernel info:
; codeLenInByte = 11984
; NumSgprs: 54
; NumVgprs: 252
; ScratchSize: 0
; MemoryBound: 0
; FloatMode: 240
; IeeeMode: 1
; LDSByteSize: 0 bytes/workgroup (compile time only)
; SGPRBlocks: 6
; VGPRBlocks: 31
; NumSGPRsForWavesPerEU: 54
; NumVGPRsForWavesPerEU: 252
; Occupancy: 5
; WaveLimiterHint : 1
; COMPUTE_PGM_RSRC2:SCRATCH_EN: 0
; COMPUTE_PGM_RSRC2:USER_SGPR: 2
; COMPUTE_PGM_RSRC2:TRAP_HANDLER: 0
; COMPUTE_PGM_RSRC2:TGID_X_EN: 1
; COMPUTE_PGM_RSRC2:TGID_Y_EN: 0
; COMPUTE_PGM_RSRC2:TGID_Z_EN: 0
; COMPUTE_PGM_RSRC2:TIDIG_COMP_CNT: 0
	.text
	.p2alignl 7, 3214868480
	.fill 96, 4, 3214868480
	.type	__hip_cuid_298b74426df6ef58,@object ; @__hip_cuid_298b74426df6ef58
	.section	.bss,"aw",@nobits
	.globl	__hip_cuid_298b74426df6ef58
__hip_cuid_298b74426df6ef58:
	.byte	0                               ; 0x0
	.size	__hip_cuid_298b74426df6ef58, 1

	.ident	"AMD clang version 19.0.0git (https://github.com/RadeonOpenCompute/llvm-project roc-6.4.0 25133 c7fe45cf4b819c5991fe208aaa96edf142730f1d)"
	.section	".note.GNU-stack","",@progbits
	.addrsig
	.addrsig_sym __hip_cuid_298b74426df6ef58
	.amdgpu_metadata
---
amdhsa.kernels:
  - .args:
      - .actual_access:  read_only
        .address_space:  global
        .offset:         0
        .size:           8
        .value_kind:     global_buffer
      - .offset:         8
        .size:           8
        .value_kind:     by_value
      - .actual_access:  read_only
        .address_space:  global
        .offset:         16
        .size:           8
        .value_kind:     global_buffer
      - .actual_access:  read_only
        .address_space:  global
        .offset:         24
        .size:           8
        .value_kind:     global_buffer
      - .offset:         32
        .size:           8
        .value_kind:     by_value
      - .actual_access:  read_only
        .address_space:  global
        .offset:         40
        .size:           8
        .value_kind:     global_buffer
      - .actual_access:  read_only
        .address_space:  global
        .offset:         48
        .size:           8
        .value_kind:     global_buffer
      - .offset:         56
        .size:           4
        .value_kind:     by_value
      - .actual_access:  read_only
        .address_space:  global
        .offset:         64
        .size:           8
        .value_kind:     global_buffer
      - .actual_access:  read_only
        .address_space:  global
        .offset:         72
        .size:           8
        .value_kind:     global_buffer
      - .address_space:  global
        .offset:         80
        .size:           8
        .value_kind:     global_buffer
    .group_segment_fixed_size: 0
    .kernarg_segment_align: 8
    .kernarg_segment_size: 88
    .language:       OpenCL C
    .language_version:
      - 2
      - 0
    .max_flat_workgroup_size: 238
    .name:           fft_rtc_back_len374_factors_17_2_11_wgs_238_tpt_34_halfLds_dp_ip_CI_unitstride_sbrr_R2C_dirReg
    .private_segment_fixed_size: 0
    .sgpr_count:     54
    .sgpr_spill_count: 0
    .symbol:         fft_rtc_back_len374_factors_17_2_11_wgs_238_tpt_34_halfLds_dp_ip_CI_unitstride_sbrr_R2C_dirReg.kd
    .uniform_work_group_size: 1
    .uses_dynamic_stack: false
    .vgpr_count:     252
    .vgpr_spill_count: 0
    .wavefront_size: 32
    .workgroup_processor_mode: 1
amdhsa.target:   amdgcn-amd-amdhsa--gfx1201
amdhsa.version:
  - 1
  - 2
...

	.end_amdgpu_metadata
